;; amdgpu-corpus repo=ROCm/rocFFT kind=compiled arch=gfx906 opt=O3
	.text
	.amdgcn_target "amdgcn-amd-amdhsa--gfx906"
	.amdhsa_code_object_version 6
	.protected	fft_rtc_fwd_len1512_factors_2_2_2_3_3_3_7_wgs_63_tpt_63_halfLds_sp_ip_CI_unitstride_sbrr_dirReg ; -- Begin function fft_rtc_fwd_len1512_factors_2_2_2_3_3_3_7_wgs_63_tpt_63_halfLds_sp_ip_CI_unitstride_sbrr_dirReg
	.globl	fft_rtc_fwd_len1512_factors_2_2_2_3_3_3_7_wgs_63_tpt_63_halfLds_sp_ip_CI_unitstride_sbrr_dirReg
	.p2align	8
	.type	fft_rtc_fwd_len1512_factors_2_2_2_3_3_3_7_wgs_63_tpt_63_halfLds_sp_ip_CI_unitstride_sbrr_dirReg,@function
fft_rtc_fwd_len1512_factors_2_2_2_3_3_3_7_wgs_63_tpt_63_halfLds_sp_ip_CI_unitstride_sbrr_dirReg: ; @fft_rtc_fwd_len1512_factors_2_2_2_3_3_3_7_wgs_63_tpt_63_halfLds_sp_ip_CI_unitstride_sbrr_dirReg
; %bb.0:
	s_load_dwordx2 s[12:13], s[4:5], 0x50
	s_load_dwordx4 s[8:11], s[4:5], 0x0
	s_load_dwordx2 s[2:3], s[4:5], 0x18
	v_mul_u32_u24_e32 v1, 0x411, v0
	v_add_u32_sdwa v5, s6, v1 dst_sel:DWORD dst_unused:UNUSED_PAD src0_sel:DWORD src1_sel:WORD_1
	v_mov_b32_e32 v3, 0
	s_waitcnt lgkmcnt(0)
	v_cmp_lt_u64_e64 s[0:1], s[10:11], 2
	v_mov_b32_e32 v1, 0
	v_mov_b32_e32 v6, v3
	s_and_b64 vcc, exec, s[0:1]
	v_mov_b32_e32 v2, 0
	s_cbranch_vccnz .LBB0_8
; %bb.1:
	s_load_dwordx2 s[0:1], s[4:5], 0x10
	s_add_u32 s6, s2, 8
	s_addc_u32 s7, s3, 0
	v_mov_b32_e32 v1, 0
	v_mov_b32_e32 v2, 0
	s_waitcnt lgkmcnt(0)
	s_add_u32 s14, s0, 8
	s_addc_u32 s15, s1, 0
	s_mov_b64 s[16:17], 1
.LBB0_2:                                ; =>This Inner Loop Header: Depth=1
	s_load_dwordx2 s[18:19], s[14:15], 0x0
                                        ; implicit-def: $vgpr7_vgpr8
	s_waitcnt lgkmcnt(0)
	v_or_b32_e32 v4, s19, v6
	v_cmp_ne_u64_e32 vcc, 0, v[3:4]
	s_and_saveexec_b64 s[0:1], vcc
	s_xor_b64 s[20:21], exec, s[0:1]
	s_cbranch_execz .LBB0_4
; %bb.3:                                ;   in Loop: Header=BB0_2 Depth=1
	v_cvt_f32_u32_e32 v4, s18
	v_cvt_f32_u32_e32 v7, s19
	s_sub_u32 s0, 0, s18
	s_subb_u32 s1, 0, s19
	v_mac_f32_e32 v4, 0x4f800000, v7
	v_rcp_f32_e32 v4, v4
	v_mul_f32_e32 v4, 0x5f7ffffc, v4
	v_mul_f32_e32 v7, 0x2f800000, v4
	v_trunc_f32_e32 v7, v7
	v_mac_f32_e32 v4, 0xcf800000, v7
	v_cvt_u32_f32_e32 v7, v7
	v_cvt_u32_f32_e32 v4, v4
	v_mul_lo_u32 v8, s0, v7
	v_mul_hi_u32 v9, s0, v4
	v_mul_lo_u32 v11, s1, v4
	v_mul_lo_u32 v10, s0, v4
	v_add_u32_e32 v8, v9, v8
	v_add_u32_e32 v8, v8, v11
	v_mul_hi_u32 v9, v4, v10
	v_mul_lo_u32 v11, v4, v8
	v_mul_hi_u32 v13, v4, v8
	v_mul_hi_u32 v12, v7, v10
	v_mul_lo_u32 v10, v7, v10
	v_mul_hi_u32 v14, v7, v8
	v_add_co_u32_e32 v9, vcc, v9, v11
	v_addc_co_u32_e32 v11, vcc, 0, v13, vcc
	v_mul_lo_u32 v8, v7, v8
	v_add_co_u32_e32 v9, vcc, v9, v10
	v_addc_co_u32_e32 v9, vcc, v11, v12, vcc
	v_addc_co_u32_e32 v10, vcc, 0, v14, vcc
	v_add_co_u32_e32 v8, vcc, v9, v8
	v_addc_co_u32_e32 v9, vcc, 0, v10, vcc
	v_add_co_u32_e32 v4, vcc, v4, v8
	v_addc_co_u32_e32 v7, vcc, v7, v9, vcc
	v_mul_lo_u32 v8, s0, v7
	v_mul_hi_u32 v9, s0, v4
	v_mul_lo_u32 v10, s1, v4
	v_mul_lo_u32 v11, s0, v4
	v_add_u32_e32 v8, v9, v8
	v_add_u32_e32 v8, v8, v10
	v_mul_lo_u32 v12, v4, v8
	v_mul_hi_u32 v13, v4, v11
	v_mul_hi_u32 v14, v4, v8
	;; [unrolled: 1-line block ×3, first 2 shown]
	v_mul_lo_u32 v11, v7, v11
	v_mul_hi_u32 v9, v7, v8
	v_add_co_u32_e32 v12, vcc, v13, v12
	v_addc_co_u32_e32 v13, vcc, 0, v14, vcc
	v_mul_lo_u32 v8, v7, v8
	v_add_co_u32_e32 v11, vcc, v12, v11
	v_addc_co_u32_e32 v10, vcc, v13, v10, vcc
	v_addc_co_u32_e32 v9, vcc, 0, v9, vcc
	v_add_co_u32_e32 v8, vcc, v10, v8
	v_addc_co_u32_e32 v9, vcc, 0, v9, vcc
	v_add_co_u32_e32 v4, vcc, v4, v8
	v_addc_co_u32_e32 v9, vcc, v7, v9, vcc
	v_mad_u64_u32 v[7:8], s[0:1], v5, v9, 0
	v_mul_hi_u32 v10, v5, v4
	v_add_co_u32_e32 v11, vcc, v10, v7
	v_addc_co_u32_e32 v12, vcc, 0, v8, vcc
	v_mad_u64_u32 v[7:8], s[0:1], v6, v4, 0
	v_mad_u64_u32 v[9:10], s[0:1], v6, v9, 0
	v_add_co_u32_e32 v4, vcc, v11, v7
	v_addc_co_u32_e32 v4, vcc, v12, v8, vcc
	v_addc_co_u32_e32 v7, vcc, 0, v10, vcc
	v_add_co_u32_e32 v4, vcc, v4, v9
	v_addc_co_u32_e32 v9, vcc, 0, v7, vcc
	v_mul_lo_u32 v10, s19, v4
	v_mul_lo_u32 v11, s18, v9
	v_mad_u64_u32 v[7:8], s[0:1], s18, v4, 0
	v_add3_u32 v8, v8, v11, v10
	v_sub_u32_e32 v10, v6, v8
	v_mov_b32_e32 v11, s19
	v_sub_co_u32_e32 v7, vcc, v5, v7
	v_subb_co_u32_e64 v10, s[0:1], v10, v11, vcc
	v_subrev_co_u32_e64 v11, s[0:1], s18, v7
	v_subbrev_co_u32_e64 v10, s[0:1], 0, v10, s[0:1]
	v_cmp_le_u32_e64 s[0:1], s19, v10
	v_cndmask_b32_e64 v12, 0, -1, s[0:1]
	v_cmp_le_u32_e64 s[0:1], s18, v11
	v_cndmask_b32_e64 v11, 0, -1, s[0:1]
	v_cmp_eq_u32_e64 s[0:1], s19, v10
	v_cndmask_b32_e64 v10, v12, v11, s[0:1]
	v_add_co_u32_e64 v11, s[0:1], 2, v4
	v_addc_co_u32_e64 v12, s[0:1], 0, v9, s[0:1]
	v_add_co_u32_e64 v13, s[0:1], 1, v4
	v_addc_co_u32_e64 v14, s[0:1], 0, v9, s[0:1]
	v_subb_co_u32_e32 v8, vcc, v6, v8, vcc
	v_cmp_ne_u32_e64 s[0:1], 0, v10
	v_cmp_le_u32_e32 vcc, s19, v8
	v_cndmask_b32_e64 v10, v14, v12, s[0:1]
	v_cndmask_b32_e64 v12, 0, -1, vcc
	v_cmp_le_u32_e32 vcc, s18, v7
	v_cndmask_b32_e64 v7, 0, -1, vcc
	v_cmp_eq_u32_e32 vcc, s19, v8
	v_cndmask_b32_e32 v7, v12, v7, vcc
	v_cmp_ne_u32_e32 vcc, 0, v7
	v_cndmask_b32_e64 v7, v13, v11, s[0:1]
	v_cndmask_b32_e32 v8, v9, v10, vcc
	v_cndmask_b32_e32 v7, v4, v7, vcc
.LBB0_4:                                ;   in Loop: Header=BB0_2 Depth=1
	s_andn2_saveexec_b64 s[0:1], s[20:21]
	s_cbranch_execz .LBB0_6
; %bb.5:                                ;   in Loop: Header=BB0_2 Depth=1
	v_cvt_f32_u32_e32 v4, s18
	s_sub_i32 s20, 0, s18
	v_rcp_iflag_f32_e32 v4, v4
	v_mul_f32_e32 v4, 0x4f7ffffe, v4
	v_cvt_u32_f32_e32 v4, v4
	v_mul_lo_u32 v7, s20, v4
	v_mul_hi_u32 v7, v4, v7
	v_add_u32_e32 v4, v4, v7
	v_mul_hi_u32 v4, v5, v4
	v_mul_lo_u32 v7, v4, s18
	v_add_u32_e32 v8, 1, v4
	v_sub_u32_e32 v7, v5, v7
	v_subrev_u32_e32 v9, s18, v7
	v_cmp_le_u32_e32 vcc, s18, v7
	v_cndmask_b32_e32 v7, v7, v9, vcc
	v_cndmask_b32_e32 v4, v4, v8, vcc
	v_add_u32_e32 v8, 1, v4
	v_cmp_le_u32_e32 vcc, s18, v7
	v_cndmask_b32_e32 v7, v4, v8, vcc
	v_mov_b32_e32 v8, v3
.LBB0_6:                                ;   in Loop: Header=BB0_2 Depth=1
	s_or_b64 exec, exec, s[0:1]
	v_mul_lo_u32 v4, v8, s18
	v_mul_lo_u32 v11, v7, s19
	v_mad_u64_u32 v[9:10], s[0:1], v7, s18, 0
	s_load_dwordx2 s[0:1], s[6:7], 0x0
	s_add_u32 s16, s16, 1
	v_add3_u32 v4, v10, v11, v4
	v_sub_co_u32_e32 v5, vcc, v5, v9
	v_subb_co_u32_e32 v4, vcc, v6, v4, vcc
	s_waitcnt lgkmcnt(0)
	v_mul_lo_u32 v4, s0, v4
	v_mul_lo_u32 v6, s1, v5
	v_mad_u64_u32 v[1:2], s[0:1], s0, v5, v[1:2]
	s_addc_u32 s17, s17, 0
	s_add_u32 s6, s6, 8
	v_add3_u32 v2, v6, v2, v4
	v_mov_b32_e32 v4, s10
	v_mov_b32_e32 v5, s11
	s_addc_u32 s7, s7, 0
	v_cmp_ge_u64_e32 vcc, s[16:17], v[4:5]
	s_add_u32 s14, s14, 8
	s_addc_u32 s15, s15, 0
	s_cbranch_vccnz .LBB0_9
; %bb.7:                                ;   in Loop: Header=BB0_2 Depth=1
	v_mov_b32_e32 v5, v7
	v_mov_b32_e32 v6, v8
	s_branch .LBB0_2
.LBB0_8:
	v_mov_b32_e32 v8, v6
	v_mov_b32_e32 v7, v5
.LBB0_9:
	s_lshl_b64 s[0:1], s[10:11], 3
	s_add_u32 s0, s2, s0
	s_addc_u32 s1, s3, s1
	s_load_dwordx2 s[2:3], s[0:1], 0x0
	s_load_dwordx2 s[6:7], s[4:5], 0x20
	v_mov_b32_e32 v48, 0
	v_mov_b32_e32 v49, 0
	;; [unrolled: 1-line block ×3, first 2 shown]
	s_waitcnt lgkmcnt(0)
	v_mad_u64_u32 v[1:2], s[0:1], s2, v7, v[1:2]
	s_mov_b32 s0, 0x4104105
	v_mul_lo_u32 v3, s2, v8
	v_mul_lo_u32 v4, s3, v7
	v_mul_hi_u32 v5, v0, s0
	v_cmp_gt_u64_e64 s[0:1], s[6:7], v[7:8]
	v_mov_b32_e32 v6, v48
	v_add3_u32 v2, v4, v2, v3
	v_mul_u32_u24_e32 v3, 63, v5
	v_sub_u32_e32 v0, v0, v3
	v_lshlrev_b64 v[2:3], 3, v[1:2]
	v_mov_b32_e32 v8, v48
	v_mov_b32_e32 v32, v48
	;; [unrolled: 1-line block ×20, first 2 shown]
                                        ; implicit-def: $vgpr51
                                        ; implicit-def: $vgpr5
                                        ; implicit-def: $vgpr41
                                        ; implicit-def: $vgpr39
                                        ; implicit-def: $vgpr21
                                        ; implicit-def: $vgpr15
                                        ; implicit-def: $vgpr17
                                        ; implicit-def: $vgpr25
                                        ; implicit-def: $vgpr35
                                        ; implicit-def: $vgpr47
                                        ; implicit-def: $vgpr13
                                        ; implicit-def: $vgpr19
	s_and_saveexec_b64 s[2:3], s[0:1]
	s_cbranch_execz .LBB0_11
; %bb.10:
	v_mov_b32_e32 v1, 0
	v_mov_b32_e32 v4, s13
	v_add_co_u32_e32 v6, vcc, s12, v2
	v_addc_co_u32_e32 v7, vcc, v4, v3, vcc
	v_lshlrev_b64 v[4:5], 3, v[0:1]
	s_movk_i32 s4, 0x2000
	v_add_co_u32_e32 v16, vcc, v6, v4
	v_addc_co_u32_e32 v17, vcc, v7, v5, vcc
	v_add_co_u32_e32 v52, vcc, 0x1000, v16
	v_addc_co_u32_e32 v53, vcc, 0, v17, vcc
	v_add_co_u32_e32 v54, vcc, s4, v16
	global_load_dwordx2 v[48:49], v[16:17], off
	global_load_dwordx2 v[6:7], v[16:17], off offset:504
	global_load_dwordx2 v[8:9], v[16:17], off offset:1008
	;; [unrolled: 1-line block ×7, first 2 shown]
	v_addc_co_u32_e32 v55, vcc, 0, v17, vcc
	global_load_dwordx2 v[32:33], v[16:17], off offset:2016
	global_load_dwordx2 v[22:23], v[16:17], off offset:2520
	;; [unrolled: 1-line block ×15, first 2 shown]
                                        ; kill: killed $vgpr16 killed $vgpr17
                                        ; kill: killed $vgpr52 killed $vgpr53
	global_load_dwordx2 v[16:17], v[54:55], off offset:3400
.LBB0_11:
	s_or_b64 exec, exec, s[2:3]
	s_waitcnt vmcnt(19)
	v_sub_f32_e32 v52, v48, v50
	v_sub_f32_e32 v57, v49, v51
	v_fma_f32 v51, v48, 2.0, -v52
	s_waitcnt vmcnt(16)
	v_sub_f32_e32 v59, v10, v4
	v_lshl_add_u32 v4, v0, 3, 0
	v_fma_f32 v56, v49, 2.0, -v57
	v_sub_f32_e32 v49, v6, v18
	ds_write_b64 v4, v[51:52]
	v_add_u32_e32 v51, 63, v0
	v_fma_f32 v48, v6, 2.0, -v49
	v_sub_f32_e32 v54, v8, v12
	s_waitcnt vmcnt(7)
	v_sub_f32_e32 v62, v32, v40
	v_lshl_add_u32 v12, v51, 3, 0
	v_fma_f32 v61, v32, 2.0, -v62
	ds_write_b64 v12, v[48:49]
	s_waitcnt vmcnt(6)
	v_sub_f32_e32 v49, v22, v38
	v_add_u32_e32 v32, 0x13b, v0
	v_fma_f32 v48, v22, 2.0, -v49
	v_lshl_add_u32 v38, v32, 3, 0
	ds_write_b64 v38, v[48:49]
	s_waitcnt vmcnt(5)
	v_sub_f32_e32 v49, v26, v46
	v_add_u32_e32 v22, 0x17a, v0
	v_fma_f32 v48, v26, 2.0, -v49
	v_lshl_add_u32 v26, v22, 3, 0
	;; [unrolled: 6-line block ×4, first 2 shown]
	v_fma_f32 v58, v10, 2.0, -v59
	ds_write_b64 v30, v[48:49]
	s_waitcnt vmcnt(2)
	v_sub_f32_e32 v49, v36, v24
	v_add_u32_e32 v10, 0x237, v0
	v_fma_f32 v48, v36, 2.0, -v49
	v_lshl_add_u32 v34, v10, 3, 0
	v_fma_f32 v53, v8, 2.0, -v54
	ds_write_b64 v34, v[48:49]
	s_waitcnt vmcnt(1)
	v_sub_f32_e32 v49, v42, v14
	v_add_u32_e32 v8, 0x276, v0
	v_add_u32_e32 v50, 0xfc, v0
	v_fma_f32 v48, v42, 2.0, -v49
	v_lshl_add_u32 v36, v8, 3, 0
	v_add_u32_e32 v1, 0x7e, v0
	v_add_u32_e32 v60, 0xbd, v0
	v_lshl_add_u32 v85, v50, 3, 0
	ds_write_b64 v36, v[48:49]
	s_waitcnt vmcnt(0)
	v_sub_f32_e32 v49, v44, v16
	v_add_u32_e32 v6, 0x2b5, v0
	v_lshl_add_u32 v83, v1, 3, 0
	v_lshl_add_u32 v84, v60, 3, 0
	ds_write_b64 v85, v[61:62]
	v_fma_f32 v48, v44, 2.0, -v49
	v_lshl_add_u32 v44, v6, 3, 0
	v_lshl_add_u32 v61, v0, 2, 0
	v_sub_f32_e32 v5, v11, v5
	ds_write_b64 v83, v[53:54]
	ds_write_b64 v84, v[58:59]
	;; [unrolled: 1-line block ×3, first 2 shown]
	s_waitcnt lgkmcnt(0)
	; wave barrier
	s_waitcnt lgkmcnt(0)
	v_add_u32_e32 v54, 0xa00, v61
	v_add_u32_e32 v40, 0xc00, v61
	;; [unrolled: 1-line block ×10, first 2 shown]
	ds_read2_b32 v[52:53], v61 offset1:63
	ds_read2_b32 v[58:59], v54 offset0:116 offset1:179
	ds_read2_b32 v[63:64], v61 offset0:126 offset1:189
	;; [unrolled: 1-line block ×11, first 2 shown]
	s_waitcnt lgkmcnt(0)
	; wave barrier
	s_waitcnt lgkmcnt(0)
	ds_write_b64 v4, v[56:57]
	v_fma_f32 v4, v11, 2.0, -v5
	ds_write_b64 v84, v[4:5]
	v_sub_f32_e32 v5, v33, v41
	v_fma_f32 v4, v33, 2.0, -v5
	ds_write_b64 v85, v[4:5]
	v_sub_f32_e32 v5, v23, v39
	;; [unrolled: 3-line block ×3, first 2 shown]
	v_fma_f32 v4, v27, 2.0, -v5
	v_sub_f32_e32 v57, v7, v19
	ds_write_b64 v26, v[4:5]
	v_sub_f32_e32 v5, v29, v21
	v_fma_f32 v56, v7, 2.0, -v57
	v_sub_f32_e32 v13, v9, v13
	v_fma_f32 v4, v29, 2.0, -v5
	ds_write_b64 v12, v[56:57]
	v_fma_f32 v12, v9, 2.0, -v13
	ds_write_b64 v28, v[4:5]
	v_sub_f32_e32 v5, v31, v35
	ds_write_b64 v83, v[12:13]
	v_fma_f32 v4, v31, 2.0, -v5
	v_sub_f32_e32 v12, v37, v25
	v_sub_f32_e32 v24, v43, v15
	;; [unrolled: 1-line block ×3, first 2 shown]
	v_and_b32_e32 v7, 1, v51
	v_fma_f32 v11, v37, 2.0, -v12
	v_fma_f32 v23, v43, 2.0, -v24
	;; [unrolled: 1-line block ×3, first 2 shown]
	ds_write_b64 v30, v[4:5]
	ds_write_b64 v34, v[11:12]
	;; [unrolled: 1-line block ×4, first 2 shown]
	v_lshlrev_b32_e32 v4, 3, v7
	s_waitcnt lgkmcnt(0)
	; wave barrier
	s_waitcnt lgkmcnt(0)
	global_load_dwordx2 v[4:5], v4, s[8:9]
	v_and_b32_e32 v15, 1, v60
	v_and_b32_e32 v9, 1, v0
	v_lshlrev_b32_e32 v17, 3, v15
	v_and_b32_e32 v19, 1, v32
	v_lshlrev_b32_e32 v13, 3, v9
	v_lshlrev_b32_e32 v21, 3, v19
	global_load_dwordx2 v[11:12], v17, s[8:9]
	global_load_dwordx2 v[23:24], v21, s[8:9]
	;; [unrolled: 1-line block ×3, first 2 shown]
	v_and_b32_e32 v13, 1, v18
	v_lshlrev_b32_e32 v17, 3, v13
	global_load_dwordx2 v[27:28], v17, s[8:9]
	v_and_b32_e32 v17, 1, v10
	v_lshlrev_b32_e32 v21, 3, v17
	global_load_dwordx2 v[29:30], v21, s[8:9]
	;; [unrolled: 3-line block ×3, first 2 shown]
	ds_read2_b32 v[35:36], v54 offset0:116 offset1:179
	s_movk_i32 s2, 0x7c
	v_lshlrev_b32_e32 v86, 1, v51
	v_lshlrev_b32_e32 v88, 1, v60
	;; [unrolled: 1-line block ×3, first 2 shown]
	s_movk_i32 s3, 0x2fc
	v_lshlrev_b32_e32 v91, 1, v32
	v_and_or_b32 v19, v91, s3, v19
	v_lshl_add_u32 v19, v19, 2, 0
	v_lshlrev_b32_e32 v92, 1, v22
	v_lshlrev_b32_e32 v94, 1, v18
	;; [unrolled: 1-line block ×5, first 2 shown]
	s_movk_i32 s3, 0x2f8
	s_waitcnt vmcnt(6) lgkmcnt(0)
	v_mul_f32_e32 v31, v36, v5
	v_mul_f32_e32 v39, v59, v5
	v_fma_f32 v31, v59, v4, -v31
	v_fmac_f32_e32 v39, v36, v4
	ds_read2_b32 v[4:5], v40 offset0:114 offset1:177
	s_waitcnt vmcnt(5)
	v_mul_f32_e32 v41, v66, v12
	s_waitcnt vmcnt(4)
	v_mul_f32_e32 v83, v70, v24
	;; [unrolled: 2-line block ×3, first 2 shown]
	v_mul_f32_e32 v36, v35, v26
	v_fmac_f32_e32 v37, v35, v25
	s_waitcnt lgkmcnt(0)
	v_mul_f32_e32 v35, v5, v12
	v_fma_f32 v35, v66, v11, -v35
	v_fmac_f32_e32 v41, v5, v11
	ds_read2_b32 v[11:12], v48 offset0:112 offset1:175
	v_mul_f32_e32 v47, v65, v26
	v_mul_f32_e32 v5, v4, v26
	v_fmac_f32_e32 v47, v4, v25
	v_fma_f32 v38, v65, v25, -v5
	s_waitcnt lgkmcnt(0)
	v_mul_f32_e32 v4, v12, v24
	v_fma_f32 v43, v70, v23, -v4
	ds_read2_b32 v[4:5], v62 offset0:110 offset1:173
	v_mul_f32_e32 v84, v69, v26
	v_fmac_f32_e32 v83, v12, v23
	v_mul_f32_e32 v12, v11, v26
	v_fmac_f32_e32 v84, v11, v25
	s_waitcnt vmcnt(2) lgkmcnt(0)
	v_mul_f32_e32 v11, v5, v28
	v_fma_f32 v44, v69, v25, -v12
	v_fma_f32 v45, v74, v27, -v11
	ds_read2_b32 v[11:12], v16 offset0:108 offset1:171
	v_mul_f32_e32 v74, v74, v28
	v_fmac_f32_e32 v74, v5, v27
	v_mul_f32_e32 v5, v4, v26
	v_fma_f32 v56, v73, v25, -v5
	v_mul_f32_e32 v73, v73, v26
	v_fmac_f32_e32 v73, v4, v25
	s_waitcnt vmcnt(1) lgkmcnt(0)
	v_mul_f32_e32 v4, v12, v30
	v_fma_f32 v57, v78, v29, -v4
	ds_read2_b32 v[4:5], v49 offset0:106 offset1:169
	v_mul_f32_e32 v78, v78, v30
	v_fmac_f32_e32 v78, v12, v29
	v_mul_f32_e32 v12, v11, v26
	v_fma_f32 v36, v58, v25, -v36
	v_fma_f32 v58, v77, v25, -v12
	v_mul_f32_e32 v77, v77, v26
	v_fmac_f32_e32 v77, v11, v25
	s_waitcnt lgkmcnt(0)
	v_mul_f32_e32 v11, v4, v26
	v_fma_f32 v59, v81, v25, -v11
	v_mul_f32_e32 v81, v81, v26
	v_fmac_f32_e32 v81, v4, v25
	s_waitcnt vmcnt(0)
	v_mul_f32_e32 v4, v5, v34
	v_fma_f32 v65, v82, v33, -v4
	v_mul_f32_e32 v82, v82, v34
	v_lshlrev_b32_e32 v4, 1, v0
	v_fmac_f32_e32 v82, v5, v33
	v_sub_f32_e32 v5, v52, v36
	v_and_or_b32 v36, v4, s2, v9
	v_lshl_add_u32 v85, v36, 2, 0
	v_fma_f32 v36, v52, 2.0, -v5
	s_movk_i32 s2, 0xfc
	ds_read2_b32 v[11:12], v61 offset1:63
	ds_read2_b32 v[23:24], v61 offset0:126 offset1:189
	ds_read2_b32 v[25:26], v14 offset0:124 offset1:187
	;; [unrolled: 1-line block ×5, first 2 shown]
	s_waitcnt lgkmcnt(0)
	; wave barrier
	s_waitcnt lgkmcnt(0)
	ds_write2_b32 v85, v36, v5 offset1:2
	v_sub_f32_e32 v5, v53, v31
	v_and_or_b32 v7, v86, s2, v7
	v_fma_f32 v31, v53, 2.0, -v5
	v_lshl_add_u32 v7, v7, 2, 0
	ds_write2_b32 v7, v31, v5 offset1:2
	s_movk_i32 s2, 0x1fc
	v_lshlrev_b32_e32 v31, 1, v1
	v_sub_f32_e32 v5, v63, v38
	v_and_or_b32 v36, v31, s2, v9
	v_lshl_add_u32 v87, v36, 2, 0
	v_fma_f32 v36, v63, 2.0, -v5
	ds_write2_b32 v87, v36, v5 offset1:2
	v_sub_f32_e32 v5, v64, v35
	v_and_or_b32 v15, v88, s2, v15
	v_fma_f32 v35, v64, 2.0, -v5
	v_lshl_add_u32 v15, v15, 2, 0
	s_movk_i32 s2, 0x3fc
	ds_write2_b32 v15, v35, v5 offset1:2
	v_sub_f32_e32 v5, v67, v44
	v_and_or_b32 v35, v89, s2, v9
	v_lshl_add_u32 v90, v35, 2, 0
	v_fma_f32 v35, v67, 2.0, -v5
	ds_write2_b32 v90, v35, v5 offset1:2
	v_sub_f32_e32 v5, v68, v43
	v_fma_f32 v35, v68, 2.0, -v5
	ds_write2_b32 v19, v35, v5 offset1:2
	v_sub_f32_e32 v5, v71, v56
	v_and_or_b32 v35, v92, s2, v9
	v_lshl_add_u32 v93, v35, 2, 0
	v_fma_f32 v35, v71, 2.0, -v5
	ds_write2_b32 v93, v35, v5 offset1:2
	v_sub_f32_e32 v5, v72, v45
	v_and_or_b32 v13, v94, s2, v13
	v_fma_f32 v35, v72, 2.0, -v5
	v_lshl_add_u32 v13, v13, 2, 0
	s_movk_i32 s2, 0x7fc
	ds_write2_b32 v13, v35, v5 offset1:2
	v_sub_f32_e32 v5, v75, v58
	v_and_or_b32 v35, v95, s2, v9
	v_lshl_add_u32 v96, v35, 2, 0
	v_fma_f32 v35, v75, 2.0, -v5
	s_movk_i32 s2, 0x4fc
	ds_write2_b32 v96, v35, v5 offset1:2
	v_sub_f32_e32 v5, v76, v57
	v_and_or_b32 v17, v97, s2, v17
	v_fma_f32 v35, v76, 2.0, -v5
	v_lshl_add_u32 v17, v17, 2, 0
	s_movk_i32 s2, 0x5fc
	ds_write2_b32 v17, v35, v5 offset1:2
	v_sub_f32_e32 v5, v79, v59
	v_and_or_b32 v9, v98, s2, v9
	v_lshl_add_u32 v9, v9, 2, 0
	v_fma_f32 v35, v79, 2.0, -v5
	v_lshlrev_b32_e32 v79, 1, v6
	ds_write2_b32 v9, v35, v5 offset1:2
	v_sub_f32_e32 v5, v80, v65
	v_and_or_b32 v21, v79, s2, v21
	v_fma_f32 v35, v80, 2.0, -v5
	v_lshl_add_u32 v21, v21, 2, 0
	ds_write2_b32 v21, v35, v5 offset1:2
	v_sub_f32_e32 v5, v11, v37
	v_fma_f32 v11, v11, 2.0, -v5
	s_waitcnt lgkmcnt(0)
	; wave barrier
	s_waitcnt lgkmcnt(0)
	ds_read2_b32 v[35:36], v61 offset1:63
	ds_read2_b32 v[37:38], v54 offset0:116 offset1:179
	ds_read2_b32 v[43:44], v61 offset0:126 offset1:189
	;; [unrolled: 1-line block ×11, first 2 shown]
	s_waitcnt lgkmcnt(0)
	; wave barrier
	s_waitcnt lgkmcnt(0)
	ds_write2_b32 v85, v11, v5 offset1:2
	v_sub_f32_e32 v5, v12, v39
	v_fma_f32 v11, v12, 2.0, -v5
	ds_write2_b32 v7, v11, v5 offset1:2
	v_sub_f32_e32 v5, v23, v47
	v_fma_f32 v7, v23, 2.0, -v5
	ds_write2_b32 v87, v7, v5 offset1:2
	v_sub_f32_e32 v5, v24, v41
	v_fma_f32 v7, v24, 2.0, -v5
	ds_write2_b32 v15, v7, v5 offset1:2
	v_sub_f32_e32 v5, v25, v84
	v_fma_f32 v7, v25, 2.0, -v5
	ds_write2_b32 v90, v7, v5 offset1:2
	v_sub_f32_e32 v5, v26, v83
	v_fma_f32 v7, v26, 2.0, -v5
	ds_write2_b32 v19, v7, v5 offset1:2
	v_sub_f32_e32 v5, v27, v73
	v_fma_f32 v7, v27, 2.0, -v5
	ds_write2_b32 v93, v7, v5 offset1:2
	v_sub_f32_e32 v5, v28, v74
	v_fma_f32 v7, v28, 2.0, -v5
	ds_write2_b32 v13, v7, v5 offset1:2
	v_sub_f32_e32 v5, v29, v77
	v_fma_f32 v7, v29, 2.0, -v5
	ds_write2_b32 v96, v7, v5 offset1:2
	v_sub_f32_e32 v5, v30, v78
	v_fma_f32 v7, v30, 2.0, -v5
	ds_write2_b32 v17, v7, v5 offset1:2
	v_sub_f32_e32 v5, v33, v81
	v_fma_f32 v7, v33, 2.0, -v5
	ds_write2_b32 v9, v7, v5 offset1:2
	v_sub_f32_e32 v5, v34, v82
	v_fma_f32 v7, v34, 2.0, -v5
	v_and_b32_e32 v15, 3, v1
	ds_write2_b32 v21, v7, v5 offset1:2
	v_lshlrev_b32_e32 v5, 3, v15
	s_waitcnt lgkmcnt(0)
	; wave barrier
	s_waitcnt lgkmcnt(0)
	global_load_dwordx2 v[11:12], v5, s[8:9] offset:16
	v_and_b32_e32 v17, 3, v60
	v_lshlrev_b32_e32 v5, 3, v17
	global_load_dwordx2 v[23:24], v5, s[8:9] offset:16
	v_and_b32_e32 v19, 3, v22
	v_lshlrev_b32_e32 v5, 3, v19
	;; [unrolled: 3-line block ×3, first 2 shown]
	v_and_b32_e32 v39, 3, v51
	global_load_dwordx2 v[27:28], v5, s[8:9] offset:16
	v_lshlrev_b32_e32 v5, 3, v39
	global_load_dwordx2 v[29:30], v5, s[8:9] offset:16
	v_and_b32_e32 v41, 3, v0
	v_lshlrev_b32_e32 v5, 3, v41
	v_and_b32_e32 v77, 3, v10
	global_load_dwordx2 v[33:34], v5, s[8:9] offset:16
	v_and_b32_e32 v47, 3, v32
	v_lshlrev_b32_e32 v7, 3, v77
	v_lshlrev_b32_e32 v5, 3, v47
	global_load_dwordx2 v[9:10], v7, s[8:9] offset:16
	global_load_dwordx2 v[73:74], v5, s[8:9] offset:16
	v_and_b32_e32 v78, 3, v8
	v_lshlrev_b32_e32 v5, 3, v78
	v_and_b32_e32 v80, 3, v6
	global_load_dwordx2 v[7:8], v5, s[8:9] offset:16
	v_lshlrev_b32_e32 v5, 3, v80
	global_load_dwordx2 v[5:6], v5, s[8:9] offset:16
	ds_read2_b32 v[75:76], v40 offset0:114 offset1:177
	s_movk_i32 s2, 0x78
	s_waitcnt vmcnt(9) lgkmcnt(0)
	v_mul_f32_e32 v13, v75, v12
	v_fma_f32 v81, v45, v11, -v13
	v_mul_f32_e32 v45, v45, v12
	v_fmac_f32_e32 v45, v75, v11
	ds_read2_b32 v[11:12], v62 offset0:110 offset1:173
	s_waitcnt vmcnt(8)
	v_mul_f32_e32 v13, v76, v24
	v_fma_f32 v75, v46, v23, -v13
	v_mul_f32_e32 v46, v46, v24
	v_fmac_f32_e32 v46, v76, v23
	ds_read2_b32 v[23:24], v54 offset0:116 offset1:179
	s_waitcnt vmcnt(7) lgkmcnt(1)
	v_mul_f32_e32 v13, v11, v26
	v_fma_f32 v76, v63, v25, -v13
	v_mul_f32_e32 v63, v63, v26
	v_fmac_f32_e32 v63, v11, v25
	s_waitcnt vmcnt(6)
	v_mul_f32_e32 v11, v12, v28
	v_fma_f32 v82, v64, v27, -v11
	v_mul_f32_e32 v64, v64, v28
	s_waitcnt vmcnt(5) lgkmcnt(0)
	v_mul_f32_e32 v11, v24, v30
	v_fmac_f32_e32 v64, v12, v27
	v_fma_f32 v83, v38, v29, -v11
	ds_read2_b32 v[11:12], v48 offset0:112 offset1:175
	v_mul_f32_e32 v90, v38, v30
	s_waitcnt vmcnt(4)
	v_mul_f32_e32 v13, v23, v34
	v_fmac_f32_e32 v90, v24, v29
	v_fma_f32 v24, v37, v33, -v13
	s_waitcnt vmcnt(2) lgkmcnt(0)
	v_mul_f32_e32 v13, v12, v74
	v_fma_f32 v38, v57, v73, -v13
	v_mul_f32_e32 v57, v57, v74
	v_fmac_f32_e32 v57, v12, v73
	ds_read2_b32 v[12:13], v16 offset0:108 offset1:171
	v_mul_f32_e32 v37, v37, v34
	v_fmac_f32_e32 v37, v23, v33
	v_mul_f32_e32 v23, v11, v34
	v_fma_f32 v73, v56, v33, -v23
	v_mul_f32_e32 v56, v56, v34
	v_fmac_f32_e32 v56, v11, v33
	s_waitcnt lgkmcnt(0)
	v_mul_f32_e32 v11, v12, v34
	v_fma_f32 v74, v67, v33, -v11
	v_mul_f32_e32 v67, v67, v34
	v_fmac_f32_e32 v67, v12, v33
	ds_read2_b32 v[11:12], v49 offset0:106 offset1:169
	v_mul_f32_e32 v23, v13, v10
	v_fma_f32 v84, v68, v9, -v23
	v_mul_f32_e32 v68, v68, v10
	v_fmac_f32_e32 v68, v13, v9
	s_waitcnt vmcnt(1) lgkmcnt(0)
	v_mul_f32_e32 v9, v11, v8
	v_mul_f32_e32 v13, v71, v8
	v_fma_f32 v9, v71, v7, -v9
	v_fmac_f32_e32 v13, v11, v7
	s_waitcnt vmcnt(0)
	v_mul_f32_e32 v7, v12, v6
	v_mul_f32_e32 v71, v72, v6
	v_fma_f32 v7, v72, v5, -v7
	v_fmac_f32_e32 v71, v12, v5
	v_sub_f32_e32 v5, v35, v24
	v_and_or_b32 v6, v4, s2, v41
	v_lshl_add_u32 v72, v6, 2, 0
	v_fma_f32 v6, v35, 2.0, -v5
	s_movk_i32 s2, 0xf8
	ds_read2_b32 v[11:12], v61 offset1:63
	ds_read2_b32 v[23:24], v61 offset0:126 offset1:189
	ds_read2_b32 v[25:26], v14 offset0:124 offset1:187
	;; [unrolled: 1-line block ×5, first 2 shown]
	s_waitcnt lgkmcnt(0)
	; wave barrier
	s_waitcnt lgkmcnt(0)
	ds_write2_b32 v72, v6, v5 offset1:4
	v_sub_f32_e32 v5, v36, v83
	v_and_or_b32 v8, v86, s2, v39
	v_fma_f32 v6, v36, 2.0, -v5
	v_lshl_add_u32 v35, v8, 2, 0
	s_movk_i32 s2, 0x1f8
	ds_write2_b32 v35, v6, v5 offset1:4
	v_and_or_b32 v5, v31, s2, v15
	v_sub_f32_e32 v6, v43, v81
	v_lshl_add_u32 v15, v5, 2, 0
	v_fma_f32 v5, v43, 2.0, -v6
	ds_write2_b32 v15, v5, v6 offset1:4
	v_sub_f32_e32 v5, v44, v75
	v_and_or_b32 v8, v88, s2, v17
	v_fma_f32 v6, v44, 2.0, -v5
	v_lshl_add_u32 v17, v8, 2, 0
	s_movk_i32 s2, 0x3f8
	ds_write2_b32 v17, v6, v5 offset1:4
	v_sub_f32_e32 v5, v52, v73
	v_and_or_b32 v6, v89, s2, v41
	v_lshl_add_u32 v31, v6, 2, 0
	v_fma_f32 v6, v52, 2.0, -v5
	ds_write2_b32 v31, v6, v5 offset1:4
	v_sub_f32_e32 v5, v53, v38
	v_and_or_b32 v8, v91, s3, v47
	v_fma_f32 v6, v53, 2.0, -v5
	v_lshl_add_u32 v36, v8, 2, 0
	ds_write2_b32 v36, v6, v5 offset1:4
	v_and_or_b32 v5, v92, s2, v19
	v_sub_f32_e32 v6, v58, v76
	v_lshl_add_u32 v19, v5, 2, 0
	v_fma_f32 v5, v58, 2.0, -v6
	ds_write2_b32 v19, v5, v6 offset1:4
	v_sub_f32_e32 v5, v59, v82
	v_and_or_b32 v8, v94, s2, v21
	v_fma_f32 v6, v59, 2.0, -v5
	v_lshl_add_u32 v21, v8, 2, 0
	s_movk_i32 s2, 0x7f8
	ds_write2_b32 v21, v6, v5 offset1:4
	v_and_or_b32 v5, v95, s2, v41
	v_sub_f32_e32 v6, v65, v74
	v_lshl_add_u32 v39, v5, 2, 0
	v_fma_f32 v5, v65, 2.0, -v6
	s_movk_i32 s2, 0x4f8
	ds_write2_b32 v39, v5, v6 offset1:4
	v_sub_f32_e32 v5, v66, v84
	v_and_or_b32 v8, v97, s2, v77
	v_fma_f32 v6, v66, 2.0, -v5
	v_lshl_add_u32 v41, v8, 2, 0
	s_movk_i32 s2, 0x5f8
	ds_write2_b32 v41, v6, v5 offset1:4
	v_and_or_b32 v5, v98, s2, v78
	v_sub_f32_e32 v6, v69, v9
	v_lshl_add_u32 v43, v5, 2, 0
	v_fma_f32 v5, v69, 2.0, -v6
	ds_write2_b32 v43, v5, v6 offset1:4
	v_sub_f32_e32 v5, v70, v7
	v_and_or_b32 v7, v79, s2, v80
	v_sub_f32_e32 v44, v11, v37
	v_fma_f32 v6, v70, 2.0, -v5
	v_lshl_add_u32 v47, v7, 2, 0
	v_fma_f32 v11, v11, 2.0, -v44
	ds_write2_b32 v47, v6, v5 offset1:4
	s_waitcnt lgkmcnt(0)
	; wave barrier
	s_waitcnt lgkmcnt(0)
	ds_read2_b32 v[37:38], v61 offset1:63
	ds_read2_b32 v[52:53], v20 offset0:120 offset1:183
	ds_read2_b32 v[75:76], v48 offset0:112 offset1:175
	;; [unrolled: 1-line block ×11, first 2 shown]
	s_waitcnt lgkmcnt(0)
	; wave barrier
	s_waitcnt lgkmcnt(0)
	ds_write2_b32 v72, v11, v44 offset1:4
	v_sub_f32_e32 v11, v12, v90
	v_fma_f32 v12, v12, 2.0, -v11
	ds_write2_b32 v35, v12, v11 offset1:4
	v_sub_f32_e32 v11, v23, v45
	v_fma_f32 v12, v23, 2.0, -v11
	;; [unrolled: 3-line block ×8, first 2 shown]
	v_sub_f32_e32 v15, v30, v68
	v_sub_f32_e32 v13, v33, v13
	;; [unrolled: 1-line block ×3, first 2 shown]
	v_fma_f32 v17, v30, 2.0, -v15
	v_fma_f32 v19, v33, 2.0, -v13
	;; [unrolled: 1-line block ×3, first 2 shown]
	ds_write2_b32 v39, v12, v11 offset1:4
	ds_write2_b32 v41, v17, v15 offset1:4
	;; [unrolled: 1-line block ×4, first 2 shown]
	v_and_b32_e32 v13, 7, v0
	v_lshlrev_b32_e32 v11, 4, v13
	s_waitcnt lgkmcnt(0)
	; wave barrier
	s_waitcnt lgkmcnt(0)
	global_load_dwordx4 v[23:26], v11, s[8:9] offset:48
	v_and_b32_e32 v15, 7, v51
	v_lshlrev_b32_e32 v11, 4, v15
	global_load_dwordx4 v[27:30], v11, s[8:9] offset:48
	v_and_b32_e32 v17, 7, v1
	v_lshlrev_b32_e32 v11, 4, v17
	;; [unrolled: 3-line block ×7, first 2 shown]
	global_load_dwordx4 v[71:74], v11, s[8:9] offset:48
	ds_read2_b32 v[11:12], v20 offset0:120 offset1:183
	ds_read2_b32 v[89:90], v48 offset0:112 offset1:175
	s_movk_i32 s2, 0xab
	s_waitcnt vmcnt(7) lgkmcnt(1)
	v_mul_f32_e32 v47, v11, v24
	v_fma_f32 v47, v52, v23, -v47
	v_mul_f32_e32 v52, v52, v24
	v_fmac_f32_e32 v52, v11, v23
	s_waitcnt lgkmcnt(0)
	v_mul_f32_e32 v11, v89, v26
	v_fma_f32 v91, v75, v25, -v11
	v_mul_f32_e32 v75, v75, v26
	s_waitcnt vmcnt(6)
	v_mul_f32_e32 v11, v12, v28
	v_mul_f32_e32 v92, v53, v28
	v_fmac_f32_e32 v75, v89, v25
	v_fma_f32 v89, v53, v27, -v11
	v_fmac_f32_e32 v92, v12, v27
	v_mul_f32_e32 v23, v90, v30
	ds_read2_b32 v[11:12], v42 offset0:118 offset1:181
	v_fma_f32 v93, v76, v29, -v23
	ds_read2_b32 v[23:24], v62 offset0:110 offset1:173
	v_mul_f32_e32 v30, v76, v30
	v_fmac_f32_e32 v30, v90, v29
	s_waitcnt vmcnt(5) lgkmcnt(1)
	v_mul_f32_e32 v25, v11, v34
	v_mul_f32_e32 v34, v77, v34
	v_fmac_f32_e32 v34, v11, v33
	s_waitcnt lgkmcnt(0)
	v_mul_f32_e32 v11, v23, v36
	v_fma_f32 v29, v77, v33, -v25
	v_fma_f32 v33, v79, v35, -v11
	v_mul_f32_e32 v36, v79, v36
	s_waitcnt vmcnt(4)
	v_mul_f32_e32 v11, v12, v44
	v_mul_f32_e32 v44, v78, v44
	v_fmac_f32_e32 v36, v23, v35
	v_fma_f32 v35, v78, v43, -v11
	v_fmac_f32_e32 v44, v12, v43
	v_mul_f32_e32 v23, v24, v46
	ds_read2_b32 v[11:12], v54 offset0:116 offset1:179
	v_mul_f32_e32 v46, v80, v46
	v_fma_f32 v43, v80, v45, -v23
	v_fmac_f32_e32 v46, v24, v45
	ds_read2_b32 v[23:24], v16 offset0:108 offset1:171
	s_waitcnt vmcnt(3) lgkmcnt(1)
	v_mul_f32_e32 v25, v11, v57
	v_mul_f32_e32 v57, v81, v57
	v_fmac_f32_e32 v57, v11, v56
	v_fma_f32 v45, v81, v56, -v25
	s_waitcnt lgkmcnt(0)
	v_mul_f32_e32 v11, v23, v59
	v_fma_f32 v56, v83, v58, -v11
	v_mul_f32_e32 v59, v83, v59
	s_waitcnt vmcnt(2)
	v_mul_f32_e32 v11, v12, v64
	v_mul_f32_e32 v64, v82, v64
	v_fmac_f32_e32 v59, v23, v58
	v_fma_f32 v58, v82, v63, -v11
	v_fmac_f32_e32 v64, v12, v63
	v_mul_f32_e32 v23, v24, v66
	ds_read2_b32 v[11:12], v40 offset0:114 offset1:177
	v_mul_f32_e32 v66, v84, v66
	v_fma_f32 v90, v84, v65, -v23
	v_fmac_f32_e32 v66, v24, v65
	ds_read2_b32 v[23:24], v49 offset0:106 offset1:169
	s_waitcnt vmcnt(1) lgkmcnt(1)
	v_mul_f32_e32 v25, v11, v68
	v_mul_f32_e32 v68, v85, v68
	v_fmac_f32_e32 v68, v11, v67
	v_fma_f32 v65, v85, v67, -v25
	s_waitcnt lgkmcnt(0)
	v_mul_f32_e32 v11, v23, v70
	v_fma_f32 v67, v87, v69, -v11
	v_mul_f32_e32 v70, v87, v70
	s_waitcnt vmcnt(0)
	v_mul_f32_e32 v11, v12, v72
	v_mul_f32_e32 v72, v86, v72
	v_fmac_f32_e32 v70, v23, v69
	v_fma_f32 v69, v86, v71, -v11
	v_fmac_f32_e32 v72, v12, v71
	v_mul_f32_e32 v11, v24, v74
	v_add_f32_e32 v12, v37, v47
	v_fma_f32 v71, v88, v73, -v11
	v_lshrrev_b32_e32 v11, 3, v0
	v_add_f32_e32 v53, v12, v91
	v_add_f32_e32 v12, v47, v91
	v_mul_f32_e32 v74, v88, v74
	v_mul_u32_u24_e32 v11, 24, v11
	v_fma_f32 v37, -0.5, v12, v37
	v_fmac_f32_e32 v74, v24, v73
	v_or_b32_e32 v11, v11, v13
	v_sub_f32_e32 v63, v52, v75
	v_mov_b32_e32 v73, v37
	v_fmac_f32_e32 v73, 0x3f5db3d7, v63
	v_lshl_add_u32 v88, v11, 2, 0
	v_fmac_f32_e32 v37, 0xbf5db3d7, v63
	ds_read2_b32 v[12:13], v61 offset1:63
	ds_read2_b32 v[23:24], v61 offset0:126 offset1:189
	ds_read2_b32 v[25:26], v14 offset0:124 offset1:187
	;; [unrolled: 1-line block ×3, first 2 shown]
	s_waitcnt lgkmcnt(0)
	; wave barrier
	s_waitcnt lgkmcnt(0)
	ds_write2_b32 v88, v53, v73 offset1:8
	v_add_f32_e32 v53, v89, v93
	ds_write_b32 v88, v37 offset:64
	v_lshrrev_b32_e32 v37, 3, v51
	v_add_f32_e32 v11, v38, v89
	v_fmac_f32_e32 v38, -0.5, v53
	v_mul_u32_u24_e32 v37, 24, v37
	v_or_b32_e32 v15, v37, v15
	v_sub_f32_e32 v37, v92, v30
	v_mov_b32_e32 v53, v38
	v_add_f32_e32 v11, v11, v93
	v_fmac_f32_e32 v53, 0x3f5db3d7, v37
	v_lshl_add_u32 v15, v15, 2, 0
	v_lshrrev_b32_e32 v63, 3, v1
	ds_write2_b32 v15, v11, v53 offset1:8
	v_fmac_f32_e32 v38, 0xbf5db3d7, v37
	v_mul_u32_u24_e32 v11, 24, v63
	v_add_f32_e32 v37, v29, v33
	v_or_b32_e32 v11, v11, v17
	v_add_f32_e32 v17, v9, v29
	v_fma_f32 v9, -0.5, v37, v9
	ds_write_b32 v15, v38 offset:64
	v_sub_f32_e32 v37, v34, v36
	v_mov_b32_e32 v38, v9
	v_add_f32_e32 v17, v17, v33
	v_fmac_f32_e32 v38, 0x3f5db3d7, v37
	v_lshl_add_u32 v73, v11, 2, 0
	v_fmac_f32_e32 v9, 0xbf5db3d7, v37
	ds_write2_b32 v73, v17, v38 offset1:8
	v_add_f32_e32 v17, v35, v43
	ds_write_b32 v73, v9 offset:64
	v_lshrrev_b32_e32 v9, 3, v60
	v_add_f32_e32 v11, v10, v35
	v_fmac_f32_e32 v10, -0.5, v17
	v_mul_u32_u24_e32 v9, 24, v9
	v_or_b32_e32 v9, v9, v19
	v_sub_f32_e32 v17, v44, v46
	v_mov_b32_e32 v19, v10
	v_add_f32_e32 v11, v11, v43
	v_fmac_f32_e32 v19, 0x3f5db3d7, v17
	v_lshl_add_u32 v94, v9, 2, 0
	ds_write2_b32 v94, v11, v19 offset1:8
	v_fmac_f32_e32 v10, 0xbf5db3d7, v17
	v_lshrrev_b32_e32 v9, 3, v50
	v_add_f32_e32 v11, v45, v56
	ds_write_b32 v94, v10 offset:64
	v_mul_u32_u24_e32 v9, 24, v9
	v_add_f32_e32 v10, v7, v45
	v_fma_f32 v7, -0.5, v11, v7
	v_or_b32_e32 v9, v9, v21
	v_sub_f32_e32 v11, v57, v59
	v_mov_b32_e32 v17, v7
	v_add_f32_e32 v10, v10, v56
	v_fmac_f32_e32 v17, 0x3f5db3d7, v11
	v_lshl_add_u32 v19, v9, 2, 0
	v_fmac_f32_e32 v7, 0xbf5db3d7, v11
	ds_write2_b32 v19, v10, v17 offset1:8
	v_add_f32_e32 v10, v58, v90
	ds_write_b32 v19, v7 offset:64
	v_lshrrev_b32_e32 v7, 3, v32
	v_add_f32_e32 v9, v8, v58
	v_fmac_f32_e32 v8, -0.5, v10
	v_mul_u32_u24_e32 v7, 24, v7
	v_or_b32_e32 v7, v7, v31
	v_sub_f32_e32 v10, v64, v66
	v_mov_b32_e32 v11, v8
	v_add_f32_e32 v9, v9, v90
	v_fmac_f32_e32 v11, 0x3f5db3d7, v10
	v_lshl_add_u32 v17, v7, 2, 0
	v_lshrrev_b32_e32 v7, 3, v22
	ds_write2_b32 v17, v9, v11 offset1:8
	v_fmac_f32_e32 v8, 0xbf5db3d7, v10
	v_mul_u32_u24_e32 v7, 24, v7
	v_add_f32_e32 v9, v65, v67
	ds_write_b32 v17, v8 offset:64
	v_or_b32_e32 v7, v7, v39
	v_add_f32_e32 v8, v5, v65
	v_fma_f32 v5, -0.5, v9, v5
	v_sub_f32_e32 v9, v68, v70
	v_mov_b32_e32 v10, v5
	v_lshl_add_u32 v21, v7, 2, 0
	v_fmac_f32_e32 v5, 0xbf5db3d7, v9
	ds_write_b32 v21, v5 offset:64
	v_lshrrev_b32_e32 v5, 3, v18
	v_mul_u32_u24_e32 v5, 24, v5
	v_or_b32_e32 v5, v5, v41
	v_add_f32_e32 v8, v8, v67
	v_fmac_f32_e32 v10, 0x3f5db3d7, v9
	v_lshl_add_u32 v31, v5, 2, 0
	v_add_f32_e32 v5, v12, v52
	ds_write2_b32 v21, v8, v10 offset1:8
	v_add_f32_e32 v8, v69, v71
	v_add_f32_e32 v39, v5, v75
	;; [unrolled: 1-line block ×4, first 2 shown]
	v_fmac_f32_e32 v6, -0.5, v8
	v_sub_f32_e32 v41, v47, v91
	v_fma_f32 v47, -0.5, v5, v12
	v_sub_f32_e32 v8, v72, v74
	v_mov_b32_e32 v9, v6
	v_mov_b32_e32 v75, v47
	v_add_f32_e32 v7, v7, v71
	v_fmac_f32_e32 v9, 0x3f5db3d7, v8
	v_fmac_f32_e32 v6, 0xbf5db3d7, v8
	;; [unrolled: 1-line block ×3, first 2 shown]
	ds_write2_b32 v31, v7, v9 offset1:8
	ds_write_b32 v31, v6 offset:64
	s_waitcnt lgkmcnt(0)
	; wave barrier
	s_waitcnt lgkmcnt(0)
	ds_read2_b32 v[11:12], v61 offset1:63
	ds_read2_b32 v[37:38], v20 offset0:120 offset1:183
	ds_read2_b32 v[52:53], v48 offset0:112 offset1:175
	;; [unrolled: 1-line block ×11, first 2 shown]
	s_waitcnt lgkmcnt(0)
	; wave barrier
	s_waitcnt lgkmcnt(0)
	ds_write2_b32 v88, v39, v75 offset1:8
	v_add_f32_e32 v39, v13, v92
	v_add_f32_e32 v39, v39, v30
	;; [unrolled: 1-line block ×3, first 2 shown]
	v_fmac_f32_e32 v13, -0.5, v30
	v_fmac_f32_e32 v47, 0x3f5db3d7, v41
	v_sub_f32_e32 v30, v89, v93
	v_mov_b32_e32 v41, v13
	v_fmac_f32_e32 v41, 0xbf5db3d7, v30
	v_fmac_f32_e32 v13, 0x3f5db3d7, v30
	ds_write_b32 v88, v47 offset:64
	ds_write2_b32 v15, v39, v41 offset1:8
	ds_write_b32 v15, v13 offset:64
	v_add_f32_e32 v15, v34, v36
	v_sub_f32_e32 v29, v29, v33
	v_fma_f32 v15, -0.5, v15, v23
	v_add_f32_e32 v13, v23, v34
	v_mov_b32_e32 v23, v15
	v_fmac_f32_e32 v15, 0x3f5db3d7, v29
	v_add_f32_e32 v13, v13, v36
	v_fmac_f32_e32 v23, 0xbf5db3d7, v29
	ds_write_b32 v73, v15 offset:64
	v_add_f32_e32 v15, v44, v46
	ds_write2_b32 v73, v13, v23 offset1:8
	v_add_f32_e32 v13, v24, v44
	v_fmac_f32_e32 v24, -0.5, v15
	v_sub_f32_e32 v15, v35, v43
	v_mov_b32_e32 v23, v24
	v_add_f32_e32 v13, v13, v46
	v_fmac_f32_e32 v23, 0xbf5db3d7, v15
	v_fmac_f32_e32 v24, 0x3f5db3d7, v15
	v_add_f32_e32 v15, v57, v59
	ds_write2_b32 v94, v13, v23 offset1:8
	v_sub_f32_e32 v23, v45, v56
	v_fma_f32 v15, -0.5, v15, v25
	ds_write_b32 v94, v24 offset:64
	v_add_f32_e32 v13, v25, v57
	v_mov_b32_e32 v24, v15
	v_fmac_f32_e32 v15, 0x3f5db3d7, v23
	v_add_f32_e32 v13, v13, v59
	v_fmac_f32_e32 v24, 0xbf5db3d7, v23
	ds_write_b32 v19, v15 offset:64
	v_add_f32_e32 v15, v64, v66
	ds_write2_b32 v19, v13, v24 offset1:8
	v_add_f32_e32 v13, v26, v64
	v_fmac_f32_e32 v26, -0.5, v15
	v_sub_f32_e32 v15, v58, v90
	v_mov_b32_e32 v19, v26
	v_fmac_f32_e32 v19, 0xbf5db3d7, v15
	v_fmac_f32_e32 v26, 0x3f5db3d7, v15
	v_add_f32_e32 v15, v68, v70
	v_add_f32_e32 v13, v13, v66
	v_fma_f32 v15, -0.5, v15, v27
	ds_write2_b32 v17, v13, v19 offset1:8
	v_sub_f32_e32 v19, v65, v67
	v_mov_b32_e32 v23, v15
	v_add_f32_e32 v24, v72, v74
	v_add_f32_e32 v13, v27, v68
	v_fmac_f32_e32 v23, 0xbf5db3d7, v19
	v_fmac_f32_e32 v15, 0x3f5db3d7, v19
	v_add_f32_e32 v19, v28, v72
	v_fmac_f32_e32 v28, -0.5, v24
	v_add_f32_e32 v13, v13, v70
	v_sub_f32_e32 v24, v69, v71
	v_mov_b32_e32 v25, v28
	v_add_f32_e32 v19, v19, v74
	v_fmac_f32_e32 v25, 0xbf5db3d7, v24
	v_fmac_f32_e32 v28, 0x3f5db3d7, v24
	ds_write_b32 v17, v26 offset:64
	ds_write2_b32 v21, v13, v23 offset1:8
	ds_write_b32 v21, v15 offset:64
	ds_write2_b32 v31, v19, v25 offset1:8
	ds_write_b32 v31, v28 offset:64
	v_mul_lo_u16_sdwa v13, v0, s2 dst_sel:DWORD dst_unused:UNUSED_PAD src0_sel:BYTE_0 src1_sel:DWORD
	v_lshrrev_b16_e32 v15, 12, v13
	v_mul_lo_u16_e32 v13, 24, v15
	v_sub_u16_e32 v19, v0, v13
	v_mov_b32_e32 v13, 4
	v_lshlrev_b32_sdwa v17, v13, v19 dst_sel:DWORD dst_unused:UNUSED_PAD src0_sel:DWORD src1_sel:BYTE_0
	s_waitcnt lgkmcnt(0)
	; wave barrier
	s_waitcnt lgkmcnt(0)
	global_load_dwordx4 v[23:26], v17, s[8:9] offset:176
	v_mul_lo_u16_sdwa v17, v51, s2 dst_sel:DWORD dst_unused:UNUSED_PAD src0_sel:BYTE_0 src1_sel:DWORD
	v_lshrrev_b16_e32 v21, 12, v17
	v_mul_lo_u16_e32 v17, 24, v21
	v_sub_u16_e32 v31, v51, v17
	v_lshlrev_b32_sdwa v17, v13, v31 dst_sel:DWORD dst_unused:UNUSED_PAD src0_sel:DWORD src1_sel:BYTE_0
	global_load_dwordx4 v[27:30], v17, s[8:9] offset:176
	v_mul_lo_u16_sdwa v17, v1, s2 dst_sel:DWORD dst_unused:UNUSED_PAD src0_sel:BYTE_0 src1_sel:DWORD
	v_lshrrev_b16_e32 v39, 12, v17
	v_mul_lo_u16_e32 v17, 24, v39
	v_sub_u16_e32 v41, v1, v17
	v_lshlrev_b32_sdwa v17, v13, v41 dst_sel:DWORD dst_unused:UNUSED_PAD src0_sel:DWORD src1_sel:BYTE_0
	global_load_dwordx4 v[33:36], v17, s[8:9] offset:176
	v_mul_lo_u16_sdwa v17, v60, s2 dst_sel:DWORD dst_unused:UNUSED_PAD src0_sel:BYTE_0 src1_sel:DWORD
	v_lshrrev_b16_e32 v47, 12, v17
	v_mul_lo_u16_e32 v17, 24, v47
	v_sub_u16_e32 v92, v60, v17
	v_lshlrev_b32_sdwa v17, v13, v92 dst_sel:DWORD dst_unused:UNUSED_PAD src0_sel:DWORD src1_sel:BYTE_0
	s_mov_b32 s2, 0xaaab
	global_load_dwordx4 v[43:46], v17, s[8:9] offset:176
	v_mul_u32_u24_sdwa v17, v50, s2 dst_sel:DWORD dst_unused:UNUSED_PAD src0_sel:WORD_0 src1_sel:DWORD
	v_lshrrev_b32_e32 v93, 20, v17
	v_mul_lo_u16_e32 v17, 24, v93
	v_sub_u16_e32 v94, v50, v17
	v_lshlrev_b32_e32 v17, 4, v94
	global_load_dwordx4 v[56:59], v17, s[8:9] offset:176
	v_mul_u32_u24_sdwa v17, v32, s2 dst_sel:DWORD dst_unused:UNUSED_PAD src0_sel:WORD_0 src1_sel:DWORD
	v_lshrrev_b32_e32 v95, 20, v17
	v_mul_lo_u16_e32 v17, 24, v95
	v_sub_u16_e32 v96, v32, v17
	v_lshlrev_b32_e32 v17, 4, v96
	;; [unrolled: 6-line block ×4, first 2 shown]
	global_load_dwordx4 v[72:75], v17, s[8:9] offset:176
	ds_read2_b32 v[88:89], v20 offset0:120 offset1:183
	ds_read2_b32 v[90:91], v48 offset0:112 offset1:175
	v_mul_u32_u24_e32 v15, 0x120, v15
	s_mov_b32 s2, 0xe38f
	s_waitcnt vmcnt(7) lgkmcnt(1)
	v_mul_f32_e32 v17, v88, v24
	v_fma_f32 v101, v37, v23, -v17
	v_mul_f32_e32 v37, v37, v24
	s_waitcnt lgkmcnt(0)
	v_mul_f32_e32 v17, v90, v26
	v_fmac_f32_e32 v37, v88, v23
	v_fma_f32 v88, v52, v25, -v17
	v_mul_f32_e32 v52, v52, v26
	ds_read2_b32 v[23:24], v42 offset0:118 offset1:181
	v_fmac_f32_e32 v52, v90, v25
	ds_read2_b32 v[25:26], v62 offset0:110 offset1:173
	s_waitcnt vmcnt(6)
	v_mul_f32_e32 v17, v89, v28
	v_fma_f32 v90, v38, v27, -v17
	v_mul_f32_e32 v104, v38, v28
	v_mul_f32_e32 v17, v91, v30
	v_fmac_f32_e32 v104, v89, v27
	v_fma_f32 v89, v53, v29, -v17
	v_mul_f32_e32 v53, v53, v30
	s_waitcnt vmcnt(5) lgkmcnt(1)
	v_mul_f32_e32 v17, v23, v34
	v_fmac_f32_e32 v53, v91, v29
	v_fma_f32 v91, v76, v33, -v17
	v_mul_f32_e32 v34, v76, v34
	s_waitcnt lgkmcnt(0)
	v_mul_f32_e32 v17, v25, v36
	v_fmac_f32_e32 v34, v23, v33
	v_fma_f32 v33, v78, v35, -v17
	v_mul_f32_e32 v36, v78, v36
	s_waitcnt vmcnt(4)
	v_mul_f32_e32 v17, v24, v44
	v_mul_f32_e32 v76, v77, v44
	v_fmac_f32_e32 v36, v25, v35
	v_fma_f32 v35, v77, v43, -v17
	v_fmac_f32_e32 v76, v24, v43
	v_mul_f32_e32 v17, v26, v46
	ds_read2_b32 v[23:24], v54 offset0:116 offset1:179
	v_mul_f32_e32 v46, v79, v46
	v_fmac_f32_e32 v46, v26, v45
	ds_read2_b32 v[25:26], v16 offset0:108 offset1:171
	v_fma_f32 v43, v79, v45, -v17
	s_waitcnt vmcnt(3) lgkmcnt(1)
	v_mul_f32_e32 v17, v23, v57
	v_fma_f32 v77, v80, v56, -v17
	v_mul_f32_e32 v105, v80, v57
	s_waitcnt lgkmcnt(0)
	v_mul_f32_e32 v17, v25, v59
	v_fmac_f32_e32 v105, v23, v56
	v_fma_f32 v56, v82, v58, -v17
	s_waitcnt vmcnt(2)
	v_mul_f32_e32 v17, v24, v65
	v_mul_f32_e32 v65, v81, v65
	;; [unrolled: 1-line block ×3, first 2 shown]
	v_fma_f32 v82, v81, v64, -v17
	v_fmac_f32_e32 v65, v24, v64
	v_mul_f32_e32 v17, v26, v67
	ds_read2_b32 v[23:24], v40 offset0:114 offset1:177
	v_mul_f32_e32 v67, v83, v67
	v_fmac_f32_e32 v59, v25, v58
	v_fmac_f32_e32 v67, v26, v66
	ds_read2_b32 v[25:26], v49 offset0:106 offset1:169
	v_fma_f32 v64, v83, v66, -v17
	s_waitcnt vmcnt(1) lgkmcnt(1)
	v_mul_f32_e32 v17, v23, v69
	v_fma_f32 v66, v84, v68, -v17
	v_mul_f32_e32 v69, v84, v69
	s_waitcnt lgkmcnt(0)
	v_mul_f32_e32 v17, v25, v71
	v_fmac_f32_e32 v69, v23, v68
	v_fma_f32 v68, v86, v70, -v17
	v_mul_f32_e32 v71, v86, v71
	s_waitcnt vmcnt(0)
	v_mul_f32_e32 v17, v24, v73
	v_fmac_f32_e32 v71, v25, v70
	v_fma_f32 v70, v85, v72, -v17
	v_mul_f32_e32 v17, v26, v75
	v_fma_f32 v84, v87, v74, -v17
	v_mov_b32_e32 v17, 2
	v_lshlrev_b32_sdwa v19, v17, v19 dst_sel:DWORD dst_unused:UNUSED_PAD src0_sel:DWORD src1_sel:BYTE_0
	v_add_f32_e32 v23, v101, v88
	v_add3_u32 v15, 0, v15, v19
	v_add_f32_e32 v19, v11, v101
	v_fma_f32 v11, -0.5, v23, v11
	v_sub_f32_e32 v38, v37, v52
	v_mov_b32_e32 v44, v11
	v_mul_f32_e32 v83, v85, v73
	v_mul_f32_e32 v75, v87, v75
	v_add_f32_e32 v19, v19, v88
	v_fmac_f32_e32 v44, 0x3f5db3d7, v38
	v_fmac_f32_e32 v11, 0xbf5db3d7, v38
	v_add_f32_e32 v38, v90, v89
	v_fmac_f32_e32 v83, v24, v72
	v_fmac_f32_e32 v75, v26, v74
	ds_read2_b32 v[23:24], v61 offset1:63
	ds_read2_b32 v[25:26], v61 offset0:126 offset1:189
	ds_read2_b32 v[27:28], v14 offset0:124 offset1:187
	;; [unrolled: 1-line block ×3, first 2 shown]
	s_waitcnt lgkmcnt(0)
	; wave barrier
	s_waitcnt lgkmcnt(0)
	ds_write2_b32 v15, v19, v44 offset1:24
	v_add_f32_e32 v19, v12, v90
	v_fmac_f32_e32 v12, -0.5, v38
	ds_write_b32 v15, v11 offset:192
	v_mul_u32_u24_e32 v11, 0x120, v21
	v_lshlrev_b32_sdwa v21, v17, v31 dst_sel:DWORD dst_unused:UNUSED_PAD src0_sel:DWORD src1_sel:BYTE_0
	v_add3_u32 v21, 0, v11, v21
	v_add_f32_e32 v11, v19, v89
	v_sub_f32_e32 v19, v104, v53
	v_mov_b32_e32 v31, v12
	v_fmac_f32_e32 v31, 0x3f5db3d7, v19
	v_fmac_f32_e32 v12, 0xbf5db3d7, v19
	ds_write2_b32 v21, v11, v31 offset1:24
	ds_write_b32 v21, v12 offset:192
	v_mul_u32_u24_e32 v11, 0x120, v39
	v_lshlrev_b32_sdwa v12, v17, v41 dst_sel:DWORD dst_unused:UNUSED_PAD src0_sel:DWORD src1_sel:BYTE_0
	v_add_f32_e32 v19, v91, v33
	v_add3_u32 v12, 0, v11, v12
	v_add_f32_e32 v11, v9, v91
	v_fma_f32 v9, -0.5, v19, v9
	v_sub_f32_e32 v19, v34, v36
	v_mov_b32_e32 v31, v9
	v_add_f32_e32 v11, v11, v33
	v_fmac_f32_e32 v31, 0x3f5db3d7, v19
	v_fmac_f32_e32 v9, 0xbf5db3d7, v19
	v_add_f32_e32 v19, v35, v43
	ds_write2_b32 v12, v11, v31 offset1:24
	v_add_f32_e32 v11, v10, v35
	v_fmac_f32_e32 v10, -0.5, v19
	ds_write_b32 v12, v9 offset:192
	v_mul_u32_u24_e32 v9, 0x120, v47
	v_lshlrev_b32_sdwa v19, v17, v92 dst_sel:DWORD dst_unused:UNUSED_PAD src0_sel:DWORD src1_sel:BYTE_0
	v_add3_u32 v19, 0, v9, v19
	v_add_f32_e32 v9, v11, v43
	v_sub_f32_e32 v11, v76, v46
	v_mov_b32_e32 v31, v10
	v_fmac_f32_e32 v31, 0x3f5db3d7, v11
	v_fmac_f32_e32 v10, 0xbf5db3d7, v11
	ds_write2_b32 v19, v9, v31 offset1:24
	ds_write_b32 v19, v10 offset:192
	v_mul_u32_u24_e32 v9, 0x120, v93
	v_lshlrev_b32_e32 v10, 2, v94
	v_add3_u32 v31, 0, v9, v10
	v_add_f32_e32 v10, v77, v56
	v_add_f32_e32 v9, v7, v77
	v_fma_f32 v7, -0.5, v10, v7
	v_sub_f32_e32 v10, v105, v59
	v_mov_b32_e32 v11, v7
	v_add_f32_e32 v9, v9, v56
	v_fmac_f32_e32 v11, 0x3f5db3d7, v10
	v_fmac_f32_e32 v7, 0xbf5db3d7, v10
	v_add_f32_e32 v10, v82, v64
	ds_write2_b32 v31, v9, v11 offset1:24
	v_add_f32_e32 v9, v8, v82
	v_fmac_f32_e32 v8, -0.5, v10
	ds_write_b32 v31, v7 offset:192
	v_mul_u32_u24_e32 v7, 0x120, v95
	v_lshlrev_b32_e32 v10, 2, v96
	v_add3_u32 v39, 0, v7, v10
	v_add_f32_e32 v7, v9, v64
	v_sub_f32_e32 v9, v65, v67
	v_mov_b32_e32 v10, v8
	v_fmac_f32_e32 v10, 0x3f5db3d7, v9
	v_fmac_f32_e32 v8, 0xbf5db3d7, v9
	ds_write2_b32 v39, v7, v10 offset1:24
	ds_write_b32 v39, v8 offset:192
	v_mul_u32_u24_e32 v7, 0x120, v97
	v_lshlrev_b32_e32 v8, 2, v98
	v_add3_u32 v41, 0, v7, v8
	v_add_f32_e32 v8, v66, v68
	v_add_f32_e32 v7, v5, v66
	v_fma_f32 v5, -0.5, v8, v5
	v_sub_f32_e32 v8, v69, v71
	v_mov_b32_e32 v9, v5
	v_add_f32_e32 v7, v7, v68
	v_fmac_f32_e32 v9, 0x3f5db3d7, v8
	v_fmac_f32_e32 v5, 0xbf5db3d7, v8
	v_add_f32_e32 v8, v70, v84
	ds_write2_b32 v41, v7, v9 offset1:24
	v_add_f32_e32 v7, v6, v70
	v_fmac_f32_e32 v6, -0.5, v8
	ds_write_b32 v41, v5 offset:192
	v_mul_u32_u24_e32 v5, 0x120, v99
	v_lshlrev_b32_e32 v8, 2, v100
	v_add3_u32 v5, 0, v5, v8
	v_sub_f32_e32 v8, v83, v75
	v_mov_b32_e32 v9, v6
	v_fmac_f32_e32 v6, 0xbf5db3d7, v8
	ds_write_b32 v5, v6 offset:192
	v_add_f32_e32 v6, v23, v37
	v_add_f32_e32 v47, v6, v52
	;; [unrolled: 1-line block ×3, first 2 shown]
	v_sub_f32_e32 v52, v101, v88
	v_fma_f32 v23, -0.5, v6, v23
	v_add_f32_e32 v7, v7, v84
	v_fmac_f32_e32 v9, 0x3f5db3d7, v8
	v_mov_b32_e32 v74, v23
	v_fmac_f32_e32 v23, 0x3f5db3d7, v52
	ds_write2_b32 v5, v7, v9 offset1:24
	v_fmac_f32_e32 v74, 0xbf5db3d7, v52
	s_waitcnt lgkmcnt(0)
	; wave barrier
	s_waitcnt lgkmcnt(0)
	ds_read2_b32 v[98:99], v61 offset1:63
	ds_read2_b32 v[37:38], v20 offset0:120 offset1:183
	ds_read2_b32 v[44:45], v48 offset0:112 offset1:175
	ds_read2_b32 v[10:11], v61 offset0:126 offset1:189
	ds_read2_b32 v[57:58], v42 offset0:118 offset1:181
	ds_read2_b32 v[72:73], v62 offset0:110 offset1:173
	ds_read2_b32 v[8:9], v14 offset0:124 offset1:187
	ds_read2_b32 v[78:79], v54 offset0:116 offset1:179
	ds_read2_b32 v[80:81], v16 offset0:108 offset1:171
	ds_read2_b32 v[6:7], v55 offset0:122 offset1:185
	ds_read2_b32 v[100:101], v40 offset0:114 offset1:177
	ds_read2_b32 v[102:103], v49 offset0:106 offset1:169
	s_waitcnt lgkmcnt(0)
	; wave barrier
	s_waitcnt lgkmcnt(0)
	ds_write_b32 v15, v23 offset:192
	v_add_f32_e32 v23, v104, v53
	ds_write2_b32 v15, v47, v74 offset1:24
	v_add_f32_e32 v15, v24, v104
	v_fmac_f32_e32 v24, -0.5, v23
	v_sub_f32_e32 v23, v90, v89
	v_mov_b32_e32 v47, v24
	v_add_f32_e32 v15, v15, v53
	v_fmac_f32_e32 v47, 0xbf5db3d7, v23
	v_fmac_f32_e32 v24, 0x3f5db3d7, v23
	ds_write2_b32 v21, v15, v47 offset1:24
	ds_write_b32 v21, v24 offset:192
	v_add_f32_e32 v21, v34, v36
	v_fma_f32 v21, -0.5, v21, v25
	v_add_f32_e32 v15, v25, v34
	v_sub_f32_e32 v23, v91, v33
	v_mov_b32_e32 v24, v21
	v_add_f32_e32 v15, v15, v36
	v_fmac_f32_e32 v24, 0xbf5db3d7, v23
	ds_write2_b32 v12, v15, v24 offset1:24
	v_fmac_f32_e32 v21, 0x3f5db3d7, v23
	v_add_f32_e32 v15, v76, v46
	ds_write_b32 v12, v21 offset:192
	v_add_f32_e32 v12, v26, v76
	v_fmac_f32_e32 v26, -0.5, v15
	v_sub_f32_e32 v15, v35, v43
	v_mov_b32_e32 v21, v26
	v_add_f32_e32 v12, v12, v46
	v_fmac_f32_e32 v21, 0xbf5db3d7, v15
	v_fmac_f32_e32 v26, 0x3f5db3d7, v15
	v_add_f32_e32 v15, v105, v59
	ds_write2_b32 v19, v12, v21 offset1:24
	ds_write_b32 v19, v26 offset:192
	v_sub_f32_e32 v19, v77, v56
	v_fma_f32 v15, -0.5, v15, v27
	v_add_f32_e32 v12, v27, v105
	v_mov_b32_e32 v21, v15
	v_fmac_f32_e32 v15, 0x3f5db3d7, v19
	v_add_f32_e32 v12, v12, v59
	v_fmac_f32_e32 v21, 0xbf5db3d7, v19
	ds_write_b32 v31, v15 offset:192
	v_add_f32_e32 v15, v65, v67
	ds_write2_b32 v31, v12, v21 offset1:24
	v_add_f32_e32 v12, v28, v65
	v_fmac_f32_e32 v28, -0.5, v15
	v_sub_f32_e32 v15, v82, v64
	v_mov_b32_e32 v19, v28
	v_fmac_f32_e32 v19, 0xbf5db3d7, v15
	v_fmac_f32_e32 v28, 0x3f5db3d7, v15
	v_add_f32_e32 v15, v69, v71
	v_add_f32_e32 v12, v12, v67
	v_fma_f32 v15, -0.5, v15, v29
	ds_write2_b32 v39, v12, v19 offset1:24
	v_sub_f32_e32 v19, v66, v68
	v_mov_b32_e32 v21, v15
	v_add_f32_e32 v23, v83, v75
	v_add_f32_e32 v12, v29, v69
	v_fmac_f32_e32 v21, 0xbf5db3d7, v19
	v_fmac_f32_e32 v15, 0x3f5db3d7, v19
	v_add_f32_e32 v19, v30, v83
	v_fmac_f32_e32 v30, -0.5, v23
	v_add_f32_e32 v12, v12, v71
	v_sub_f32_e32 v23, v70, v84
	v_mov_b32_e32 v24, v30
	ds_write_b32 v39, v28 offset:192
	v_add_f32_e32 v19, v19, v75
	v_fmac_f32_e32 v24, 0xbf5db3d7, v23
	v_fmac_f32_e32 v30, 0x3f5db3d7, v23
	ds_write2_b32 v41, v12, v21 offset1:24
	ds_write_b32 v41, v15 offset:192
	ds_write2_b32 v5, v19, v24 offset1:24
	ds_write_b32 v5, v30 offset:192
	v_mov_b32_e32 v5, 0
	v_lshlrev_b64 v[23:24], 3, v[4:5]
	v_mov_b32_e32 v12, s9
	v_add_co_u32_e32 v23, vcc, s8, v23
	v_addc_co_u32_e32 v24, vcc, v12, v24, vcc
	v_add_u32_e32 v4, -9, v0
	v_cmp_gt_u32_e32 vcc, 9, v0
	v_cndmask_b32_e32 v19, v4, v51, vcc
	v_lshlrev_b32_e32 v4, 1, v19
	v_lshlrev_b64 v[4:5], 3, v[4:5]
	s_waitcnt lgkmcnt(0)
	v_add_co_u32_e32 v4, vcc, s8, v4
	v_addc_co_u32_e32 v5, vcc, v12, v5, vcc
	; wave barrier
	global_load_dwordx4 v[27:30], v[4:5], off offset:560
	v_mov_b32_e32 v4, 57
	global_load_dwordx4 v[23:26], v[23:24], off offset:560
	v_mul_lo_u16_sdwa v5, v1, v4 dst_sel:DWORD dst_unused:UNUSED_PAD src0_sel:BYTE_0 src1_sel:DWORD
	v_mul_lo_u16_sdwa v4, v60, v4 dst_sel:DWORD dst_unused:UNUSED_PAD src0_sel:BYTE_0 src1_sel:DWORD
	v_lshrrev_b16_e32 v21, 12, v5
	v_lshrrev_b16_e32 v64, 12, v4
	v_mul_lo_u16_e32 v5, 0x48, v21
	v_mul_lo_u16_e32 v4, 0x48, v64
	v_sub_u16_e32 v31, v1, v5
	v_sub_u16_e32 v104, v60, v4
	v_lshlrev_b32_sdwa v5, v13, v31 dst_sel:DWORD dst_unused:UNUSED_PAD src0_sel:DWORD src1_sel:BYTE_0
	v_lshlrev_b32_sdwa v4, v13, v104 dst_sel:DWORD dst_unused:UNUSED_PAD src0_sel:DWORD src1_sel:BYTE_0
	global_load_dwordx4 v[33:36], v5, s[8:9] offset:560
	global_load_dwordx4 v[65:68], v4, s[8:9] offset:560
	v_mul_u32_u24_sdwa v4, v50, s2 dst_sel:DWORD dst_unused:UNUSED_PAD src0_sel:WORD_0 src1_sel:DWORD
	v_lshrrev_b32_e32 v105, 22, v4
	v_mul_lo_u16_e32 v4, 0x48, v105
	v_sub_u16_e32 v106, v50, v4
	v_lshlrev_b32_e32 v4, 4, v106
	global_load_dwordx4 v[50:53], v4, s[8:9] offset:560
	v_mul_u32_u24_sdwa v4, v32, s2 dst_sel:DWORD dst_unused:UNUSED_PAD src0_sel:WORD_0 src1_sel:DWORD
	v_lshrrev_b32_e32 v107, 22, v4
	v_mul_lo_u16_e32 v4, 0x48, v107
	v_sub_u16_e32 v32, v32, v4
	v_lshlrev_b32_e32 v4, 4, v32
	;; [unrolled: 6-line block ×4, first 2 shown]
	global_load_dwordx4 v[94:97], v4, s[8:9] offset:560
	ds_read2_b32 v[4:5], v20 offset0:120 offset1:183
	ds_read2_b32 v[12:13], v48 offset0:112 offset1:175
	v_cmp_lt_u32_e32 vcc, 8, v0
	v_cmp_gt_u32_e64 s[2:3], 27, v0
	s_waitcnt vmcnt(7)
	v_mul_f32_e32 v70, v38, v28
	v_mul_f32_e32 v85, v45, v30
	s_waitcnt vmcnt(6)
	v_mul_f32_e32 v74, v37, v24
	s_waitcnt lgkmcnt(1)
	v_mul_f32_e32 v15, v4, v24
	v_fmac_f32_e32 v74, v4, v23
	s_waitcnt lgkmcnt(0)
	v_mul_f32_e32 v4, v12, v26
	v_mul_f32_e32 v84, v44, v26
	v_fma_f32 v77, v44, v25, -v4
	v_fmac_f32_e32 v84, v12, v25
	v_mul_f32_e32 v4, v5, v28
	v_mul_f32_e32 v12, v13, v30
	v_fma_f32 v44, v38, v27, -v4
	v_fmac_f32_e32 v70, v5, v27
	ds_read2_b32 v[4:5], v42 offset0:118 offset1:181
	v_fma_f32 v75, v45, v29, -v12
	v_fmac_f32_e32 v85, v13, v29
	ds_read2_b32 v[12:13], v62 offset0:110 offset1:173
	s_waitcnt vmcnt(5)
	v_mul_f32_e32 v71, v57, v34
	v_fma_f32 v56, v37, v23, -v15
	s_waitcnt lgkmcnt(1)
	v_mul_f32_e32 v15, v4, v34
	v_fmac_f32_e32 v71, v4, v33
	s_waitcnt lgkmcnt(0)
	v_mul_f32_e32 v4, v12, v36
	v_mul_f32_e32 v82, v72, v36
	v_fma_f32 v76, v72, v35, -v4
	v_fmac_f32_e32 v82, v12, v35
	s_waitcnt vmcnt(4)
	v_mul_f32_e32 v4, v5, v66
	v_mul_f32_e32 v66, v58, v66
	;; [unrolled: 1-line block ×4, first 2 shown]
	v_fma_f32 v41, v58, v65, -v4
	v_fmac_f32_e32 v66, v5, v65
	ds_read2_b32 v[4:5], v54 offset0:116 offset1:179
	v_fma_f32 v72, v73, v67, -v12
	v_fmac_f32_e32 v83, v13, v67
	ds_read2_b32 v[12:13], v16 offset0:108 offset1:171
	s_waitcnt vmcnt(3)
	v_mul_f32_e32 v67, v78, v51
	v_fma_f32 v46, v57, v33, -v15
	s_waitcnt lgkmcnt(1)
	v_mul_f32_e32 v15, v4, v51
	v_fmac_f32_e32 v67, v4, v50
	s_waitcnt lgkmcnt(0)
	v_mul_f32_e32 v4, v12, v53
	v_fma_f32 v73, v80, v52, -v4
	v_mul_f32_e32 v80, v80, v53
	v_fmac_f32_e32 v80, v12, v52
	s_waitcnt vmcnt(2)
	v_mul_f32_e32 v12, v13, v89
	v_mul_f32_e32 v4, v5, v87
	;; [unrolled: 1-line block ×3, first 2 shown]
	v_fma_f32 v68, v81, v88, -v12
	v_mul_f32_e32 v81, v81, v89
	v_fma_f32 v39, v79, v86, -v4
	v_fmac_f32_e32 v57, v5, v86
	ds_read2_b32 v[4:5], v40 offset0:114 offset1:177
	v_fmac_f32_e32 v81, v13, v88
	ds_read2_b32 v[12:13], v49 offset0:106 offset1:169
	s_waitcnt vmcnt(1)
	v_mul_f32_e32 v58, v100, v91
	v_fma_f32 v45, v78, v50, -v15
	s_waitcnt lgkmcnt(1)
	v_mul_f32_e32 v15, v4, v91
	v_fmac_f32_e32 v58, v4, v90
	s_waitcnt lgkmcnt(0)
	v_mul_f32_e32 v4, v12, v93
	v_fma_f32 v69, v102, v92, -v4
	s_waitcnt vmcnt(0)
	v_mul_f32_e32 v4, v5, v95
	v_fma_f32 v38, v101, v94, -v4
	v_mul_f32_e32 v4, v13, v97
	v_mul_f32_e32 v78, v102, v93
	v_fma_f32 v59, v103, v96, -v4
	v_add_f32_e32 v4, v98, v56
	v_fmac_f32_e32 v78, v12, v92
	v_mul_f32_e32 v79, v103, v97
	v_add_f32_e32 v12, v4, v77
	v_add_f32_e32 v4, v56, v77
	v_fmac_f32_e32 v79, v13, v96
	v_fma_f32 v13, -0.5, v4, v98
	v_sub_f32_e32 v20, v74, v84
	v_mul_f32_e32 v47, v101, v95
	v_mov_b32_e32 v23, v13
	v_fmac_f32_e32 v13, 0xbf5db3d7, v20
	v_fma_f32 v43, v100, v90, -v15
	v_fmac_f32_e32 v47, v5, v94
	v_fmac_f32_e32 v23, 0x3f5db3d7, v20
	ds_read2_b32 v[15:16], v14 offset0:124 offset1:187
	ds_read2_b32 v[36:37], v61 offset1:63
	ds_read2_b32 v[34:35], v61 offset0:126 offset1:189
	ds_read2_b32 v[4:5], v55 offset0:122 offset1:185
	s_waitcnt lgkmcnt(0)
	; wave barrier
	s_waitcnt lgkmcnt(0)
	v_add_f32_e32 v14, v44, v75
	ds_write_b32 v61, v13 offset:576
	v_mov_b32_e32 v13, 0x360
	ds_write2_b32 v61, v12, v23 offset1:72
	v_add_f32_e32 v12, v99, v44
	v_fmac_f32_e32 v99, -0.5, v14
	v_cndmask_b32_e32 v13, 0, v13, vcc
	v_lshlrev_b32_e32 v14, 2, v19
	v_add3_u32 v86, 0, v13, v14
	v_sub_f32_e32 v13, v70, v85
	v_mov_b32_e32 v14, v99
	v_add_f32_e32 v12, v12, v75
	v_fmac_f32_e32 v14, 0x3f5db3d7, v13
	ds_write2_b32 v86, v12, v14 offset1:72
	v_fmac_f32_e32 v99, 0xbf5db3d7, v13
	v_mul_u32_u24_e32 v12, 0x360, v21
	v_lshlrev_b32_sdwa v13, v17, v31 dst_sel:DWORD dst_unused:UNUSED_PAD src0_sel:DWORD src1_sel:BYTE_0
	v_add3_u32 v87, 0, v12, v13
	v_add_f32_e32 v13, v46, v76
	v_add_f32_e32 v12, v10, v46
	v_fma_f32 v10, -0.5, v13, v10
	v_sub_f32_e32 v13, v71, v82
	v_mov_b32_e32 v14, v10
	v_add_f32_e32 v12, v12, v76
	v_fmac_f32_e32 v14, 0x3f5db3d7, v13
	v_fmac_f32_e32 v10, 0xbf5db3d7, v13
	v_add_f32_e32 v13, v41, v72
	ds_write_b32 v86, v99 offset:576
	ds_write2_b32 v87, v12, v14 offset1:72
	v_add_f32_e32 v12, v11, v41
	v_fmac_f32_e32 v11, -0.5, v13
	ds_write_b32 v87, v10 offset:576
	v_lshlrev_b32_sdwa v10, v17, v104 dst_sel:DWORD dst_unused:UNUSED_PAD src0_sel:DWORD src1_sel:BYTE_0
	v_mul_u32_u24_e32 v13, 0x360, v64
	v_add3_u32 v17, 0, v13, v10
	v_add_f32_e32 v10, v12, v72
	v_sub_f32_e32 v12, v66, v83
	v_mov_b32_e32 v13, v11
	v_fmac_f32_e32 v13, 0x3f5db3d7, v12
	v_fmac_f32_e32 v11, 0xbf5db3d7, v12
	ds_write2_b32 v17, v10, v13 offset1:72
	ds_write_b32 v17, v11 offset:576
	v_mul_u32_u24_e32 v10, 0x360, v105
	v_lshlrev_b32_e32 v11, 2, v106
	v_add3_u32 v88, 0, v10, v11
	v_add_f32_e32 v11, v45, v73
	v_add_f32_e32 v10, v8, v45
	v_fma_f32 v8, -0.5, v11, v8
	v_sub_f32_e32 v11, v67, v80
	v_mov_b32_e32 v12, v8
	v_add_f32_e32 v10, v10, v73
	v_fmac_f32_e32 v12, 0x3f5db3d7, v11
	v_fmac_f32_e32 v8, 0xbf5db3d7, v11
	v_add_f32_e32 v11, v39, v68
	ds_write2_b32 v88, v10, v12 offset1:72
	v_add_f32_e32 v10, v9, v39
	v_fmac_f32_e32 v9, -0.5, v11
	ds_write_b32 v88, v8 offset:576
	v_mul_u32_u24_e32 v8, 0x360, v107
	v_lshlrev_b32_e32 v11, 2, v32
	v_add3_u32 v89, 0, v8, v11
	v_add_f32_e32 v8, v10, v68
	v_sub_f32_e32 v10, v57, v81
	v_mov_b32_e32 v11, v9
	v_fmac_f32_e32 v11, 0x3f5db3d7, v10
	v_fmac_f32_e32 v9, 0xbf5db3d7, v10
	ds_write2_b32 v89, v8, v11 offset1:72
	ds_write_b32 v89, v9 offset:576
	v_mul_u32_u24_e32 v8, 0x360, v108
	v_lshlrev_b32_e32 v9, 2, v22
	v_add3_u32 v90, 0, v8, v9
	v_add_f32_e32 v9, v43, v69
	v_add_f32_e32 v8, v6, v43
	v_fma_f32 v6, -0.5, v9, v6
	v_sub_f32_e32 v9, v58, v78
	v_mov_b32_e32 v10, v6
	v_add_f32_e32 v8, v8, v69
	v_fmac_f32_e32 v10, 0x3f5db3d7, v9
	v_fmac_f32_e32 v6, 0xbf5db3d7, v9
	v_add_f32_e32 v9, v38, v59
	ds_write2_b32 v90, v8, v10 offset1:72
	v_add_f32_e32 v8, v7, v38
	v_fmac_f32_e32 v7, -0.5, v9
	v_mov_b32_e32 v9, v7
	v_sub_f32_e32 v10, v47, v79
	ds_write_b32 v90, v6 offset:576
	v_lshl_add_u32 v6, v18, 2, 0
	v_add_f32_e32 v8, v8, v59
	v_fmac_f32_e32 v9, 0x3f5db3d7, v10
	v_add_u32_e32 v91, 0x1400, v6
	v_fmac_f32_e32 v7, 0xbf5db3d7, v10
	ds_write2_b32 v91, v8, v9 offset0:16 offset1:88
	ds_write_b32 v6, v7 offset:5760
	s_waitcnt lgkmcnt(0)
	; wave barrier
	s_waitcnt lgkmcnt(0)
	ds_read_b32 v65, v61 offset:5688
	ds_read2_b32 v[18:19], v61 offset1:63
	ds_read2_b32 v[28:29], v61 offset0:126 offset1:216
	ds_read2_b32 v[20:21], v55 offset0:176 offset1:239
	;; [unrolled: 1-line block ×9, first 2 shown]
                                        ; implicit-def: $vgpr64
                                        ; implicit-def: $vgpr10
                                        ; implicit-def: $vgpr13
	s_and_saveexec_b64 s[4:5], s[2:3]
	s_cbranch_execz .LBB0_13
; %bb.12:
	v_add_u32_e32 v7, 0x280, v61
	ds_read2_b32 v[8:9], v7 offset0:29 offset1:245
	v_add_u32_e32 v7, 0x980, v61
	ds_read2_b32 v[12:13], v7 offset0:13 offset1:229
	ds_read2_b32 v[10:11], v62 offset0:29 offset1:245
	ds_read_b32 v64, v61 offset:5940
	s_waitcnt lgkmcnt(2)
	v_mov_b32_e32 v7, v12
.LBB0_13:
	s_or_b64 exec, exec, s[4:5]
	v_add_f32_e32 v14, v74, v84
	v_add_f32_e32 v12, v36, v74
	v_fma_f32 v36, -0.5, v14, v36
	v_sub_f32_e32 v14, v56, v77
	v_mov_b32_e32 v56, v36
	v_fmac_f32_e32 v56, 0xbf5db3d7, v14
	v_fmac_f32_e32 v36, 0x3f5db3d7, v14
	v_add_f32_e32 v14, v37, v70
	v_add_f32_e32 v74, v14, v85
	v_add_f32_e32 v14, v70, v85
	v_fmac_f32_e32 v37, -0.5, v14
	v_sub_f32_e32 v14, v44, v75
	v_mov_b32_e32 v44, v37
	v_fmac_f32_e32 v44, 0xbf5db3d7, v14
	v_fmac_f32_e32 v37, 0x3f5db3d7, v14
	v_add_f32_e32 v14, v34, v71
	v_add_f32_e32 v70, v14, v82
	v_add_f32_e32 v14, v71, v82
	v_fma_f32 v34, -0.5, v14, v34
	v_sub_f32_e32 v14, v46, v76
	v_mov_b32_e32 v46, v34
	v_fmac_f32_e32 v46, 0xbf5db3d7, v14
	v_fmac_f32_e32 v34, 0x3f5db3d7, v14
	v_add_f32_e32 v14, v35, v66
	v_add_f32_e32 v71, v14, v83
	v_add_f32_e32 v14, v66, v83
	v_fmac_f32_e32 v35, -0.5, v14
	v_sub_f32_e32 v14, v41, v72
	v_mov_b32_e32 v41, v35
	v_fmac_f32_e32 v41, 0xbf5db3d7, v14
	v_fmac_f32_e32 v35, 0x3f5db3d7, v14
	v_add_f32_e32 v14, v15, v67
	;; [unrolled: 16-line block ×3, first 2 shown]
	v_add_f32_e32 v57, v14, v78
	v_add_f32_e32 v14, v58, v78
	v_fma_f32 v4, -0.5, v14, v4
	v_sub_f32_e32 v14, v43, v69
	v_mov_b32_e32 v43, v4
	v_add_f32_e32 v15, v47, v79
	v_fmac_f32_e32 v43, 0xbf5db3d7, v14
	v_fmac_f32_e32 v4, 0x3f5db3d7, v14
	v_add_f32_e32 v14, v5, v47
	v_fmac_f32_e32 v5, -0.5, v15
	v_add_f32_e32 v12, v12, v84
	v_sub_f32_e32 v38, v38, v59
	v_mov_b32_e32 v15, v5
	v_add_f32_e32 v14, v14, v79
	v_fmac_f32_e32 v15, 0xbf5db3d7, v38
	v_fmac_f32_e32 v5, 0x3f5db3d7, v38
	s_waitcnt lgkmcnt(0)
	; wave barrier
	s_waitcnt lgkmcnt(0)
	ds_write2_b32 v61, v12, v56 offset1:72
	ds_write_b32 v61, v36 offset:576
	ds_write2_b32 v86, v74, v44 offset1:72
	ds_write_b32 v86, v37 offset:576
	;; [unrolled: 2-line block ×7, first 2 shown]
	ds_write2_b32 v91, v14, v15 offset0:16 offset1:88
	ds_write_b32 v6, v5 offset:5760
	s_waitcnt lgkmcnt(0)
	; wave barrier
	s_waitcnt lgkmcnt(0)
	ds_read2_b32 v[34:35], v61 offset1:63
	ds_read2_b32 v[46:47], v61 offset0:126 offset1:216
	ds_read2_b32 v[38:39], v55 offset0:176 offset1:239
	;; [unrolled: 1-line block ×9, first 2 shown]
	ds_read_b32 v4, v61 offset:5688
                                        ; implicit-def: $vgpr16
                                        ; implicit-def: $vgpr12
                                        ; implicit-def: $vgpr6
	s_and_saveexec_b64 s[4:5], s[2:3]
	s_cbranch_execz .LBB0_15
; %bb.14:
	v_add_u32_e32 v5, 0x280, v61
	ds_read2_b32 v[14:15], v5 offset0:29 offset1:245
	v_add_u32_e32 v5, 0x980, v61
	v_add_u32_e32 v12, 0x1000, v61
	ds_read2_b32 v[5:6], v5 offset0:13 offset1:229
	ds_read2_b32 v[16:17], v12 offset0:29 offset1:245
	ds_read_b32 v12, v61 offset:5940
.LBB0_15:
	s_or_b64 exec, exec, s[4:5]
	s_and_saveexec_b64 s[4:5], s[0:1]
	s_cbranch_execz .LBB0_18
; %bb.16:
	v_mul_u32_u24_e32 v36, 6, v1
	v_lshlrev_b32_e32 v36, 3, v36
	global_load_dwordx4 v[66:69], v36, s[8:9] offset:1712
	global_load_dwordx4 v[70:73], v36, s[8:9] offset:1744
	;; [unrolled: 1-line block ×3, first 2 shown]
	v_mov_b32_e32 v36, 0xfffffe86
	v_mov_b32_e32 v37, 0
	v_mad_u32_u24 v36, v1, 6, v36
	v_lshlrev_b64 v[61:62], 3, v[36:37]
	v_mov_b32_e32 v78, s9
	v_add_co_u32_e32 v61, vcc, s8, v61
	v_addc_co_u32_e32 v62, vcc, v78, v62, vcc
	global_load_dwordx4 v[78:81], v[61:62], off offset:1712
	global_load_dwordx4 v[82:85], v[61:62], off offset:1744
	;; [unrolled: 1-line block ×3, first 2 shown]
	s_mov_b32 s0, 0xbeae86e6
	s_mov_b32 s4, 0xbf3bfb3b
	s_mov_b32 s1, 0x3f5ff5aa
	s_mov_b32 s5, 0x3f3bfb3b
	s_movk_i32 s6, 0x1000
	s_movk_i32 s7, 0x2000
	s_waitcnt vmcnt(5) lgkmcnt(3)
	v_mul_f32_e32 v1, v59, v67
	s_waitcnt vmcnt(4) lgkmcnt(0)
	v_mul_f32_e32 v36, v4, v73
	s_waitcnt vmcnt(3)
	v_mul_f32_e32 v61, v40, v77
	v_mul_f32_e32 v62, v57, v75
	;; [unrolled: 1-line block ×10, first 2 shown]
	v_fma_f32 v1, v53, v66, -v1
	v_fma_f32 v36, v65, v72, -v36
	;; [unrolled: 1-line block ×6, first 2 shown]
	v_fmac_f32_e32 v73, v4, v72
	v_fmac_f32_e32 v67, v59, v66
	;; [unrolled: 1-line block ×6, first 2 shown]
	v_sub_f32_e32 v4, v1, v36
	v_sub_f32_e32 v40, v22, v51
	;; [unrolled: 1-line block ×3, first 2 shown]
	v_add_f32_e32 v53, v67, v73
	v_add_f32_e32 v55, v77, v75
	;; [unrolled: 1-line block ×6, first 2 shown]
	v_sub_f32_e32 v33, v67, v73
	v_sub_f32_e32 v36, v77, v75
	;; [unrolled: 1-line block ×4, first 2 shown]
	v_add_f32_e32 v66, v53, v57
	v_sub_f32_e32 v68, v22, v26
	v_add_f32_e32 v69, v1, v26
	v_sub_f32_e32 v61, v40, v44
	v_sub_f32_e32 v65, v53, v55
	;; [unrolled: 1-line block ×5, first 2 shown]
	v_add_f32_e32 v36, v36, v51
	v_mul_f32_e32 v74, 0x3d64c772, v62
	v_add_f32_e32 v55, v55, v66
	v_mul_f32_e32 v68, 0x3d64c772, v68
	v_add_f32_e32 v22, v22, v69
	v_sub_f32_e32 v59, v4, v40
	v_add_f32_e32 v40, v40, v44
	v_mul_f32_e32 v73, 0xbf08b237, v61
	v_mov_b32_e32 v69, v74
	v_add_f32_e32 v62, v46, v55
	v_mov_b32_e32 v46, v68
	v_add_f32_e32 v61, v28, v22
	v_add_f32_e32 v36, v33, v36
	v_sub_f32_e32 v33, v51, v33
	v_add_f32_e32 v40, v4, v40
	v_mul_f32_e32 v72, 0x3f4a47b2, v65
	v_mul_f32_e32 v66, 0x3f4a47b2, v67
	v_mov_b32_e32 v77, v73
	v_fmac_f32_e32 v69, 0x3f4a47b2, v65
	v_mov_b32_e32 v65, v62
	v_fmac_f32_e32 v46, 0x3f4a47b2, v67
	v_mov_b32_e32 v67, v61
	v_sub_f32_e32 v4, v44, v4
	v_sub_f32_e32 v1, v26, v1
	v_mul_f32_e32 v51, 0x3f5ff5aa, v33
	v_mul_f32_e32 v75, 0xbf08b237, v70
	v_fmac_f32_e32 v77, 0x3eae86e6, v59
	v_fmac_f32_e32 v65, 0xbf955555, v55
	;; [unrolled: 1-line block ×3, first 2 shown]
	v_mul_f32_e32 v44, 0x3f5ff5aa, v4
	v_sub_f32_e32 v53, v57, v53
	v_fma_f32 v26, v1, s4, -v66
	v_fma_f32 v51, v71, s0, -v51
	v_mov_b32_e32 v28, v75
	v_fmac_f32_e32 v77, 0x3ee1c552, v40
	v_add_f32_e32 v22, v69, v65
	v_fma_f32 v44, v59, s0, -v44
	v_fma_f32 v55, v53, s4, -v72
	v_add_f32_e32 v26, v26, v67
	v_fmac_f32_e32 v51, 0x3ee1c552, v36
	v_fma_f32 v33, v33, s1, -v75
	v_fma_f32 v1, v1, s5, -v68
	v_fmac_f32_e32 v28, 0x3eae86e6, v71
	v_add_f32_e32 v70, v77, v22
	v_fmac_f32_e32 v44, 0x3ee1c552, v40
	v_add_f32_e32 v55, v55, v65
	v_sub_f32_e32 v71, v26, v51
	v_fmac_f32_e32 v33, 0x3ee1c552, v36
	v_add_f32_e32 v1, v1, v67
	v_add_f32_e32 v90, v51, v26
	v_sub_f32_e32 v93, v22, v77
	s_waitcnt vmcnt(0)
	v_mul_f32_e32 v22, v43, v89
	v_mul_f32_e32 v26, v39, v81
	v_add_f32_e32 v46, v46, v67
	v_fmac_f32_e32 v28, 0x3ee1c552, v36
	v_add_f32_e32 v72, v44, v55
	v_fma_f32 v53, v53, s5, -v74
	v_fma_f32 v4, v4, s1, -v73
	v_add_f32_e32 v73, v33, v1
	v_sub_f32_e32 v75, v1, v33
	v_sub_f32_e32 v91, v55, v44
	v_fma_f32 v33, v25, v88, -v22
	v_mul_f32_e32 v22, v56, v87
	v_fma_f32 v44, v21, v80, -v26
	v_mul_f32_e32 v26, v54, v83
	v_sub_f32_e32 v69, v46, v28
	v_add_f32_e32 v53, v53, v65
	v_fmac_f32_e32 v4, 0x3ee1c552, v40
	v_add_f32_e32 v92, v28, v46
	v_fma_f32 v36, v50, v86, -v22
	v_fma_f32 v46, v32, v82, -v26
	v_sub_f32_e32 v74, v53, v4
	v_add_f32_e32 v76, v4, v53
	v_sub_f32_e32 v22, v33, v36
	v_sub_f32_e32 v53, v44, v46
	;; [unrolled: 1-line block ×3, first 2 shown]
	v_mul_f32_e32 v4, v49, v85
	v_mul_f32_e32 v59, 0xbf08b237, v26
	v_mul_u32_u24_e32 v26, 6, v0
	v_mul_f32_e32 v1, v58, v79
	v_fma_f32 v4, v31, v84, -v4
	v_mul_f32_e32 v31, v31, v85
	v_lshlrev_b32_e32 v26, 3, v26
	v_fma_f32 v1, v52, v78, -v1
	v_fmac_f32_e32 v31, v49, v84
	v_mul_f32_e32 v79, v52, v79
	v_mul_f32_e32 v84, v50, v87
	global_load_dwordx4 v[49:52], v26, s[8:9] offset:1712
	global_load_dwordx4 v[65:68], v26, s[8:9] offset:1728
	v_fmac_f32_e32 v79, v58, v78
	v_fmac_f32_e32 v84, v56, v86
	global_load_dwordx4 v[55:58], v26, s[8:9] offset:1744
	v_mul_f32_e32 v32, v32, v83
	v_sub_f32_e32 v28, v1, v4
	v_mul_f32_e32 v25, v25, v89
	v_fmac_f32_e32 v32, v54, v82
	v_mul_f32_e32 v54, v21, v81
	v_sub_f32_e32 v40, v28, v22
	v_add_f32_e32 v22, v22, v53
	v_fmac_f32_e32 v25, v43, v88
	v_fmac_f32_e32 v54, v39, v80
	v_add_f32_e32 v94, v28, v22
	v_add_f32_e32 v78, v79, v31
	;; [unrolled: 1-line block ×4, first 2 shown]
	v_sub_f32_e32 v21, v22, v39
	v_add_f32_e32 v26, v78, v39
	v_mul_f32_e32 v80, 0x3d64c772, v21
	v_add_f32_e32 v26, v22, v26
	v_sub_f32_e32 v43, v78, v22
	v_mov_b32_e32 v21, v80
	v_add_f32_e32 v22, v35, v26
	v_add_f32_e32 v1, v1, v4
	;; [unrolled: 1-line block ×4, first 2 shown]
	v_mul_f32_e32 v85, 0x3f4a47b2, v43
	v_fmac_f32_e32 v21, 0x3f4a47b2, v43
	v_mov_b32_e32 v35, v22
	v_sub_f32_e32 v43, v4, v36
	v_fmac_f32_e32 v35, 0xbf955555, v26
	v_mul_f32_e32 v43, 0x3d64c772, v43
	v_add_f32_e32 v81, v21, v35
	v_sub_f32_e32 v21, v1, v4
	v_mov_b32_e32 v44, v43
	v_mul_f32_e32 v33, 0x3f4a47b2, v21
	v_fmac_f32_e32 v44, 0x3f4a47b2, v21
	v_add_f32_e32 v21, v1, v36
	v_add_f32_e32 v4, v4, v21
	;; [unrolled: 1-line block ×3, first 2 shown]
	v_sub_f32_e32 v25, v25, v84
	v_sub_f32_e32 v46, v54, v32
	v_mov_b32_e32 v19, v21
	v_sub_f32_e32 v32, v25, v46
	v_sub_f32_e32 v28, v53, v28
	v_mov_b32_e32 v77, v59
	v_fmac_f32_e32 v19, 0xbf955555, v4
	v_sub_f32_e32 v31, v79, v31
	v_mul_f32_e32 v54, 0xbf08b237, v32
	v_mul_f32_e32 v32, 0x3f5ff5aa, v28
	v_fmac_f32_e32 v77, 0x3eae86e6, v40
	v_add_f32_e32 v4, v44, v19
	v_sub_f32_e32 v44, v31, v25
	v_add_f32_e32 v25, v25, v46
	v_fma_f32 v53, v40, s0, -v32
	v_sub_f32_e32 v40, v46, v31
	v_mov_b32_e32 v79, v54
	v_add_f32_e32 v82, v31, v25
	v_sub_f32_e32 v39, v39, v78
	v_sub_f32_e32 v1, v36, v1
	v_mul_f32_e32 v31, 0x3f5ff5aa, v40
	v_fmac_f32_e32 v79, 0x3eae86e6, v44
	v_fma_f32 v32, v39, s4, -v85
	v_fma_f32 v33, v1, s4, -v33
	;; [unrolled: 1-line block ×7, first 2 shown]
	v_fmac_f32_e32 v77, 0x3ee1c552, v94
	v_fmac_f32_e32 v79, 0x3ee1c552, v82
	;; [unrolled: 1-line block ×3, first 2 shown]
	v_add_f32_e32 v78, v32, v35
	v_add_f32_e32 v33, v33, v19
	v_fmac_f32_e32 v46, 0x3ee1c552, v82
	v_add_f32_e32 v39, v36, v35
	v_fmac_f32_e32 v28, 0x3ee1c552, v94
	v_fmac_f32_e32 v44, 0x3ee1c552, v82
	v_add_f32_e32 v1, v1, v19
	s_waitcnt vmcnt(1)
	v_mul_f32_e32 v19, v42, v68
	v_add_f32_e32 v26, v77, v81
	v_sub_f32_e32 v25, v4, v79
	v_add_f32_e32 v32, v53, v78
	v_sub_f32_e32 v31, v33, v46
	v_sub_f32_e32 v36, v39, v28
	v_add_f32_e32 v35, v44, v1
	v_add_f32_e32 v40, v28, v39
	v_sub_f32_e32 v39, v1, v44
	v_sub_f32_e32 v44, v78, v53
	v_add_f32_e32 v43, v46, v33
	v_sub_f32_e32 v54, v81, v77
	v_add_f32_e32 v53, v79, v4
	v_mul_f32_e32 v1, v47, v50
	s_waitcnt vmcnt(0)
	v_mul_f32_e32 v4, v48, v58
	v_fma_f32 v33, v24, v67, -v19
	v_mul_f32_e32 v19, v45, v66
	v_mul_f32_e32 v77, v38, v52
	;; [unrolled: 1-line block ×3, first 2 shown]
	v_fma_f32 v1, v29, v49, -v1
	v_fma_f32 v4, v30, v57, -v4
	;; [unrolled: 1-line block ×5, first 2 shown]
	v_mul_f32_e32 v27, v27, v66
	v_sub_f32_e32 v28, v1, v4
	v_sub_f32_e32 v19, v33, v46
	;; [unrolled: 1-line block ×3, first 2 shown]
	v_fmac_f32_e32 v27, v45, v65
	v_mul_f32_e32 v45, v24, v68
	v_mul_f32_e32 v23, v23, v56
	v_mul_f32_e32 v20, v20, v52
	v_sub_f32_e32 v59, v28, v19
	v_sub_f32_e32 v80, v19, v79
	v_add_f32_e32 v19, v19, v79
	v_fmac_f32_e32 v45, v42, v67
	v_fmac_f32_e32 v23, v41, v55
	;; [unrolled: 1-line block ×3, first 2 shown]
	v_add_f32_e32 v82, v28, v19
	v_mul_f32_e32 v30, v30, v58
	v_mul_f32_e32 v29, v29, v50
	v_add_f32_e32 v19, v45, v27
	v_add_f32_e32 v38, v20, v23
	v_fmac_f32_e32 v30, v48, v57
	v_fmac_f32_e32 v29, v47, v49
	v_sub_f32_e32 v41, v19, v38
	v_add_f32_e32 v1, v1, v4
	v_add_f32_e32 v4, v33, v46
	v_add_f32_e32 v49, v77, v78
	v_add_f32_e32 v47, v29, v30
	v_mul_f32_e32 v41, 0x3d64c772, v41
	v_sub_f32_e32 v50, v4, v49
	v_sub_f32_e32 v24, v47, v19
	v_mov_b32_e32 v48, v41
	v_mul_f32_e32 v50, 0x3d64c772, v50
	v_mul_f32_e32 v42, 0x3f4a47b2, v24
	v_fmac_f32_e32 v48, 0x3f4a47b2, v24
	v_add_f32_e32 v24, v47, v38
	v_sub_f32_e32 v33, v1, v4
	v_mov_b32_e32 v51, v50
	v_add_f32_e32 v24, v19, v24
	v_mul_f32_e32 v46, 0x3f4a47b2, v33
	v_fmac_f32_e32 v51, 0x3f4a47b2, v33
	v_add_f32_e32 v33, v1, v49
	v_sub_f32_e32 v27, v45, v27
	v_sub_f32_e32 v20, v20, v23
	v_add_f32_e32 v19, v34, v24
	v_add_f32_e32 v4, v4, v33
	v_sub_f32_e32 v29, v29, v30
	v_sub_f32_e32 v23, v27, v20
	;; [unrolled: 1-line block ×3, first 2 shown]
	v_mov_b32_e32 v34, v19
	v_add_f32_e32 v18, v18, v4
	v_sub_f32_e32 v30, v29, v27
	v_mul_f32_e32 v45, 0xbf08b237, v23
	v_add_f32_e32 v23, v27, v20
	v_mul_f32_e32 v27, 0x3f5ff5aa, v55
	v_sub_f32_e32 v38, v38, v47
	v_fmac_f32_e32 v34, 0xbf955555, v24
	v_mov_b32_e32 v33, v18
	v_fma_f32 v56, v59, s0, -v27
	v_fma_f32 v27, v38, s4, -v42
	v_sub_f32_e32 v1, v49, v1
	v_fmac_f32_e32 v33, 0xbf955555, v4
	v_add_f32_e32 v42, v27, v34
	v_fma_f32 v27, v1, s4, -v46
	v_sub_f32_e32 v20, v20, v29
	v_add_f32_e32 v4, v51, v33
	v_mov_b32_e32 v51, v45
	v_add_f32_e32 v52, v29, v23
	v_add_f32_e32 v46, v27, v33
	v_mul_f32_e32 v27, 0x3f5ff5aa, v20
	v_fma_f32 v20, v20, s1, -v45
	v_fma_f32 v1, v1, s5, -v50
	v_fmac_f32_e32 v51, 0x3eae86e6, v30
	v_fma_f32 v29, v38, s5, -v41
	v_fmac_f32_e32 v20, 0x3ee1c552, v52
	v_add_f32_e32 v1, v1, v33
	v_add_f32_e32 v48, v48, v34
	v_fmac_f32_e32 v51, 0x3ee1c552, v52
	v_add_f32_e32 v34, v29, v34
	v_add_f32_e32 v29, v20, v1
	v_sub_f32_e32 v33, v1, v20
	v_mov_b32_e32 v1, v37
	v_sub_f32_e32 v23, v4, v51
	v_add_f32_e32 v45, v51, v4
	v_mov_b32_e32 v4, s13
	v_add_co_u32_e32 v20, vcc, s12, v2
	v_lshlrev_b64 v[1:2], 3, v[0:1]
	v_addc_co_u32_e32 v3, vcc, v4, v3, vcc
	v_mul_f32_e32 v80, 0xbf08b237, v80
	v_add_co_u32_e32 v1, vcc, v20, v1
	v_mov_b32_e32 v81, v80
	v_addc_co_u32_e32 v2, vcc, v3, v2, vcc
	v_fmac_f32_e32 v81, 0x3eae86e6, v59
	v_fma_f32 v47, v30, s0, -v27
	v_add_co_u32_e32 v3, vcc, s6, v1
	v_fmac_f32_e32 v81, 0x3ee1c552, v82
	v_fmac_f32_e32 v56, 0x3ee1c552, v82
	;; [unrolled: 1-line block ×3, first 2 shown]
	v_addc_co_u32_e32 v4, vcc, 0, v2, vcc
	v_add_f32_e32 v28, v56, v42
	v_sub_f32_e32 v27, v46, v47
	v_sub_f32_e32 v42, v42, v56
	v_add_f32_e32 v41, v47, v46
	v_sub_f32_e32 v46, v48, v81
	global_store_dwordx2 v[1:2], v[18:19], off
	global_store_dwordx2 v[1:2], v[45:46], off offset:1728
	global_store_dwordx2 v[1:2], v[41:42], off offset:3456
	v_add_co_u32_e32 v18, vcc, s7, v1
	s_mov_b32 s7, 0x97b425f
	v_mul_hi_u32 v20, v63, s7
	v_fma_f32 v38, v55, s1, -v80
	v_fmac_f32_e32 v38, 0x3ee1c552, v82
	v_sub_f32_e32 v30, v34, v38
	v_add_f32_e32 v34, v38, v34
	v_addc_co_u32_e32 v19, vcc, 0, v2, vcc
	v_add_f32_e32 v24, v81, v48
	global_store_dwordx2 v[3:4], v[33:34], off offset:1088
	global_store_dwordx2 v[3:4], v[29:30], off offset:2816
	;; [unrolled: 1-line block ×11, first 2 shown]
	v_mul_u32_u24_e32 v36, 0x510, v20
	v_lshlrev_b64 v[18:19], 3, v[36:37]
	s_movk_i32 s7, 0x3f0
	v_add_co_u32_e32 v18, vcc, v1, v18
	v_addc_co_u32_e32 v19, vcc, v2, v19, vcc
	v_add_co_u32_e32 v20, vcc, s7, v18
	v_addc_co_u32_e32 v21, vcc, 0, v19, vcc
	global_store_dwordx2 v[18:19], v[61:62], off offset:1008
	global_store_dwordx2 v[18:19], v[92:93], off offset:2736
	;; [unrolled: 1-line block ×3, first 2 shown]
	v_add_co_u32_e32 v20, vcc, s6, v18
	v_addc_co_u32_e32 v21, vcc, 0, v19, vcc
	v_add_co_u32_e32 v18, vcc, 0x2000, v18
	v_addc_co_u32_e32 v19, vcc, 0, v19, vcc
	global_store_dwordx2 v[20:21], v[75:76], off offset:2096
	global_store_dwordx2 v[20:21], v[73:74], off offset:3824
	;; [unrolled: 1-line block ×4, first 2 shown]
	s_and_b64 exec, exec, s[2:3]
	s_cbranch_execz .LBB0_18
; %bb.17:
	v_subrev_u32_e32 v0, 27, v0
	v_cndmask_b32_e64 v0, v0, v60, s[2:3]
	v_mul_i32_i24_e32 v36, 6, v0
	v_lshlrev_b64 v[18:19], 3, v[36:37]
	v_mov_b32_e32 v0, s9
	v_add_co_u32_e32 v30, vcc, s8, v18
	v_addc_co_u32_e32 v31, vcc, v0, v19, vcc
	global_load_dwordx4 v[18:21], v[30:31], off offset:1712
	global_load_dwordx4 v[22:25], v[30:31], off offset:1728
	;; [unrolled: 1-line block ×3, first 2 shown]
	s_waitcnt vmcnt(2)
	v_mul_f32_e32 v0, v15, v19
	v_mul_f32_e32 v19, v9, v19
	;; [unrolled: 1-line block ×4, first 2 shown]
	s_waitcnt vmcnt(1)
	v_mul_f32_e32 v31, v6, v23
	v_mul_f32_e32 v23, v13, v23
	;; [unrolled: 1-line block ×3, first 2 shown]
	s_waitcnt vmcnt(0)
	v_mul_f32_e32 v33, v17, v27
	v_mul_f32_e32 v27, v11, v27
	;; [unrolled: 1-line block ×5, first 2 shown]
	v_fma_f32 v0, v9, v18, -v0
	v_fmac_f32_e32 v19, v15, v18
	v_fma_f32 v7, v7, v20, -v30
	v_fmac_f32_e32 v21, v5, v20
	v_fmac_f32_e32 v23, v6, v22
	v_fma_f32 v6, v10, v24, -v32
	v_fma_f32 v9, v11, v26, -v33
	v_fmac_f32_e32 v27, v17, v26
	v_fma_f32 v10, v64, v28, -v34
	v_fmac_f32_e32 v29, v12, v28
	;; [unrolled: 2-line block ×3, first 2 shown]
	v_add_f32_e32 v11, v0, v10
	v_add_f32_e32 v12, v19, v29
	;; [unrolled: 1-line block ×4, first 2 shown]
	v_sub_f32_e32 v0, v0, v10
	v_sub_f32_e32 v10, v19, v29
	;; [unrolled: 1-line block ×4, first 2 shown]
	v_add_f32_e32 v16, v5, v6
	v_add_f32_e32 v17, v23, v25
	v_sub_f32_e32 v5, v6, v5
	v_sub_f32_e32 v6, v25, v23
	v_add_f32_e32 v18, v13, v11
	v_add_f32_e32 v19, v15, v12
	v_sub_f32_e32 v20, v13, v11
	v_sub_f32_e32 v21, v15, v12
	v_sub_f32_e32 v11, v11, v16
	v_sub_f32_e32 v12, v12, v17
	v_sub_f32_e32 v13, v16, v13
	v_sub_f32_e32 v15, v17, v15
	v_add_f32_e32 v22, v5, v7
	v_add_f32_e32 v23, v6, v9
	v_sub_f32_e32 v24, v5, v7
	v_sub_f32_e32 v25, v6, v9
	v_add_f32_e32 v16, v16, v18
	v_add_f32_e32 v17, v17, v19
	v_sub_f32_e32 v26, v0, v5
	v_sub_f32_e32 v27, v10, v6
	;; [unrolled: 1-line block ×4, first 2 shown]
	v_add_f32_e32 v0, v22, v0
	v_add_f32_e32 v10, v23, v10
	v_mul_f32_e32 v11, 0x3f4a47b2, v11
	v_mul_f32_e32 v12, 0x3f4a47b2, v12
	;; [unrolled: 1-line block ×6, first 2 shown]
	v_add_f32_e32 v5, v8, v16
	v_add_f32_e32 v6, v14, v17
	v_mul_f32_e32 v24, 0x3f5ff5aa, v7
	v_mul_f32_e32 v25, 0x3f5ff5aa, v9
	v_fma_f32 v8, v20, s5, -v18
	v_fma_f32 v14, v21, s5, -v19
	;; [unrolled: 1-line block ×3, first 2 shown]
	v_fmac_f32_e32 v11, 0x3d64c772, v13
	v_fma_f32 v13, v21, s4, -v12
	v_fmac_f32_e32 v12, 0x3d64c772, v15
	v_fma_f32 v15, v7, s1, -v22
	v_fma_f32 v19, v9, s1, -v23
	v_mov_b32_e32 v7, v5
	v_mov_b32_e32 v9, v6
	v_fmac_f32_e32 v22, 0x3eae86e6, v26
	v_fmac_f32_e32 v23, 0x3eae86e6, v27
	v_fma_f32 v20, v26, s0, -v24
	v_fma_f32 v21, v27, s0, -v25
	v_fmac_f32_e32 v7, 0xbf955555, v16
	v_fmac_f32_e32 v9, 0xbf955555, v17
	v_add_f32_e32 v17, v11, v7
	v_add_f32_e32 v24, v12, v9
	;; [unrolled: 1-line block ×6, first 2 shown]
	v_fmac_f32_e32 v22, 0x3ee1c552, v0
	v_fmac_f32_e32 v23, 0x3ee1c552, v10
	;; [unrolled: 1-line block ×6, first 2 shown]
	v_add_co_u32_e32 v0, vcc, 0x2000, v1
	v_add_f32_e32 v7, v23, v17
	v_sub_f32_e32 v8, v24, v22
	v_add_f32_e32 v9, v21, v18
	v_sub_f32_e32 v10, v25, v20
	v_sub_f32_e32 v11, v16, v19
	v_add_f32_e32 v12, v15, v14
	v_add_f32_e32 v13, v19, v16
	v_sub_f32_e32 v14, v14, v15
	global_store_dwordx2 v[1:2], v[5:6], off offset:1512
	global_store_dwordx2 v[1:2], v[7:8], off offset:3240
	;; [unrolled: 1-line block ×4, first 2 shown]
	v_addc_co_u32_e32 v1, vcc, 0, v2, vcc
	v_sub_f32_e32 v15, v18, v21
	v_add_f32_e32 v16, v20, v25
	v_sub_f32_e32 v17, v17, v23
	v_add_f32_e32 v18, v22, v24
	global_store_dwordx2 v[0:1], v[13:14], off offset:232
	global_store_dwordx2 v[0:1], v[15:16], off offset:1960
	;; [unrolled: 1-line block ×3, first 2 shown]
.LBB0_18:
	s_endpgm
	.section	.rodata,"a",@progbits
	.p2align	6, 0x0
	.amdhsa_kernel fft_rtc_fwd_len1512_factors_2_2_2_3_3_3_7_wgs_63_tpt_63_halfLds_sp_ip_CI_unitstride_sbrr_dirReg
		.amdhsa_group_segment_fixed_size 0
		.amdhsa_private_segment_fixed_size 0
		.amdhsa_kernarg_size 88
		.amdhsa_user_sgpr_count 6
		.amdhsa_user_sgpr_private_segment_buffer 1
		.amdhsa_user_sgpr_dispatch_ptr 0
		.amdhsa_user_sgpr_queue_ptr 0
		.amdhsa_user_sgpr_kernarg_segment_ptr 1
		.amdhsa_user_sgpr_dispatch_id 0
		.amdhsa_user_sgpr_flat_scratch_init 0
		.amdhsa_user_sgpr_private_segment_size 0
		.amdhsa_uses_dynamic_stack 0
		.amdhsa_system_sgpr_private_segment_wavefront_offset 0
		.amdhsa_system_sgpr_workgroup_id_x 1
		.amdhsa_system_sgpr_workgroup_id_y 0
		.amdhsa_system_sgpr_workgroup_id_z 0
		.amdhsa_system_sgpr_workgroup_info 0
		.amdhsa_system_vgpr_workitem_id 0
		.amdhsa_next_free_vgpr 109
		.amdhsa_next_free_sgpr 22
		.amdhsa_reserve_vcc 1
		.amdhsa_reserve_flat_scratch 0
		.amdhsa_float_round_mode_32 0
		.amdhsa_float_round_mode_16_64 0
		.amdhsa_float_denorm_mode_32 3
		.amdhsa_float_denorm_mode_16_64 3
		.amdhsa_dx10_clamp 1
		.amdhsa_ieee_mode 1
		.amdhsa_fp16_overflow 0
		.amdhsa_exception_fp_ieee_invalid_op 0
		.amdhsa_exception_fp_denorm_src 0
		.amdhsa_exception_fp_ieee_div_zero 0
		.amdhsa_exception_fp_ieee_overflow 0
		.amdhsa_exception_fp_ieee_underflow 0
		.amdhsa_exception_fp_ieee_inexact 0
		.amdhsa_exception_int_div_zero 0
	.end_amdhsa_kernel
	.text
.Lfunc_end0:
	.size	fft_rtc_fwd_len1512_factors_2_2_2_3_3_3_7_wgs_63_tpt_63_halfLds_sp_ip_CI_unitstride_sbrr_dirReg, .Lfunc_end0-fft_rtc_fwd_len1512_factors_2_2_2_3_3_3_7_wgs_63_tpt_63_halfLds_sp_ip_CI_unitstride_sbrr_dirReg
                                        ; -- End function
	.section	.AMDGPU.csdata,"",@progbits
; Kernel info:
; codeLenInByte = 14056
; NumSgprs: 26
; NumVgprs: 109
; ScratchSize: 0
; MemoryBound: 0
; FloatMode: 240
; IeeeMode: 1
; LDSByteSize: 0 bytes/workgroup (compile time only)
; SGPRBlocks: 3
; VGPRBlocks: 27
; NumSGPRsForWavesPerEU: 26
; NumVGPRsForWavesPerEU: 109
; Occupancy: 2
; WaveLimiterHint : 1
; COMPUTE_PGM_RSRC2:SCRATCH_EN: 0
; COMPUTE_PGM_RSRC2:USER_SGPR: 6
; COMPUTE_PGM_RSRC2:TRAP_HANDLER: 0
; COMPUTE_PGM_RSRC2:TGID_X_EN: 1
; COMPUTE_PGM_RSRC2:TGID_Y_EN: 0
; COMPUTE_PGM_RSRC2:TGID_Z_EN: 0
; COMPUTE_PGM_RSRC2:TIDIG_COMP_CNT: 0
	.type	__hip_cuid_fb696b6c2f716e92,@object ; @__hip_cuid_fb696b6c2f716e92
	.section	.bss,"aw",@nobits
	.globl	__hip_cuid_fb696b6c2f716e92
__hip_cuid_fb696b6c2f716e92:
	.byte	0                               ; 0x0
	.size	__hip_cuid_fb696b6c2f716e92, 1

	.ident	"AMD clang version 19.0.0git (https://github.com/RadeonOpenCompute/llvm-project roc-6.4.0 25133 c7fe45cf4b819c5991fe208aaa96edf142730f1d)"
	.section	".note.GNU-stack","",@progbits
	.addrsig
	.addrsig_sym __hip_cuid_fb696b6c2f716e92
	.amdgpu_metadata
---
amdhsa.kernels:
  - .args:
      - .actual_access:  read_only
        .address_space:  global
        .offset:         0
        .size:           8
        .value_kind:     global_buffer
      - .offset:         8
        .size:           8
        .value_kind:     by_value
      - .actual_access:  read_only
        .address_space:  global
        .offset:         16
        .size:           8
        .value_kind:     global_buffer
      - .actual_access:  read_only
        .address_space:  global
        .offset:         24
        .size:           8
        .value_kind:     global_buffer
      - .offset:         32
        .size:           8
        .value_kind:     by_value
      - .actual_access:  read_only
        .address_space:  global
        .offset:         40
        .size:           8
        .value_kind:     global_buffer
      - .actual_access:  read_only
        .address_space:  global
        .offset:         48
        .size:           8
        .value_kind:     global_buffer
      - .offset:         56
        .size:           4
        .value_kind:     by_value
      - .actual_access:  read_only
        .address_space:  global
        .offset:         64
        .size:           8
        .value_kind:     global_buffer
      - .actual_access:  read_only
        .address_space:  global
        .offset:         72
        .size:           8
        .value_kind:     global_buffer
      - .address_space:  global
        .offset:         80
        .size:           8
        .value_kind:     global_buffer
    .group_segment_fixed_size: 0
    .kernarg_segment_align: 8
    .kernarg_segment_size: 88
    .language:       OpenCL C
    .language_version:
      - 2
      - 0
    .max_flat_workgroup_size: 63
    .name:           fft_rtc_fwd_len1512_factors_2_2_2_3_3_3_7_wgs_63_tpt_63_halfLds_sp_ip_CI_unitstride_sbrr_dirReg
    .private_segment_fixed_size: 0
    .sgpr_count:     26
    .sgpr_spill_count: 0
    .symbol:         fft_rtc_fwd_len1512_factors_2_2_2_3_3_3_7_wgs_63_tpt_63_halfLds_sp_ip_CI_unitstride_sbrr_dirReg.kd
    .uniform_work_group_size: 1
    .uses_dynamic_stack: false
    .vgpr_count:     109
    .vgpr_spill_count: 0
    .wavefront_size: 64
amdhsa.target:   amdgcn-amd-amdhsa--gfx906
amdhsa.version:
  - 1
  - 2
...

	.end_amdgpu_metadata
